;; amdgpu-corpus repo=ROCm/rocFFT kind=compiled arch=gfx1100 opt=O3
	.text
	.amdgcn_target "amdgcn-amd-amdhsa--gfx1100"
	.amdhsa_code_object_version 6
	.protected	fft_rtc_back_len2430_factors_10_3_3_3_3_3_wgs_81_tpt_81_halfLds_dp_op_CI_CI_unitstride_sbrr_R2C_dirReg ; -- Begin function fft_rtc_back_len2430_factors_10_3_3_3_3_3_wgs_81_tpt_81_halfLds_dp_op_CI_CI_unitstride_sbrr_R2C_dirReg
	.globl	fft_rtc_back_len2430_factors_10_3_3_3_3_3_wgs_81_tpt_81_halfLds_dp_op_CI_CI_unitstride_sbrr_R2C_dirReg
	.p2align	8
	.type	fft_rtc_back_len2430_factors_10_3_3_3_3_3_wgs_81_tpt_81_halfLds_dp_op_CI_CI_unitstride_sbrr_R2C_dirReg,@function
fft_rtc_back_len2430_factors_10_3_3_3_3_3_wgs_81_tpt_81_halfLds_dp_op_CI_CI_unitstride_sbrr_R2C_dirReg: ; @fft_rtc_back_len2430_factors_10_3_3_3_3_3_wgs_81_tpt_81_halfLds_dp_op_CI_CI_unitstride_sbrr_R2C_dirReg
; %bb.0:
	s_clause 0x2
	s_load_b128 s[8:11], s[0:1], 0x0
	s_load_b128 s[4:7], s[0:1], 0x58
	;; [unrolled: 1-line block ×3, first 2 shown]
	v_mul_u32_u24_e32 v1, 0x32a, v0
	v_mov_b32_e32 v3, 0
	s_delay_alu instid0(VALU_DEP_2) | instskip(NEXT) | instid1(VALU_DEP_1)
	v_lshrrev_b32_e32 v1, 16, v1
	v_add_nc_u32_e32 v5, s15, v1
	v_mov_b32_e32 v1, 0
	v_mov_b32_e32 v2, 0
	;; [unrolled: 1-line block ×3, first 2 shown]
	s_waitcnt lgkmcnt(0)
	v_cmp_lt_u64_e64 s2, s[10:11], 2
	s_delay_alu instid0(VALU_DEP_1)
	s_and_b32 vcc_lo, exec_lo, s2
	s_cbranch_vccnz .LBB0_8
; %bb.1:
	s_load_b64 s[2:3], s[0:1], 0x10
	v_mov_b32_e32 v1, 0
	v_mov_b32_e32 v2, 0
	s_add_u32 s12, s18, 8
	s_addc_u32 s13, s19, 0
	s_add_u32 s14, s16, 8
	s_addc_u32 s15, s17, 0
	v_dual_mov_b32 v119, v2 :: v_dual_mov_b32 v118, v1
	s_mov_b64 s[22:23], 1
	s_waitcnt lgkmcnt(0)
	s_add_u32 s20, s2, 8
	s_addc_u32 s21, s3, 0
.LBB0_2:                                ; =>This Inner Loop Header: Depth=1
	s_load_b64 s[24:25], s[20:21], 0x0
                                        ; implicit-def: $vgpr122_vgpr123
	s_mov_b32 s2, exec_lo
	s_waitcnt lgkmcnt(0)
	v_or_b32_e32 v4, s25, v6
	s_delay_alu instid0(VALU_DEP_1)
	v_cmpx_ne_u64_e32 0, v[3:4]
	s_xor_b32 s3, exec_lo, s2
	s_cbranch_execz .LBB0_4
; %bb.3:                                ;   in Loop: Header=BB0_2 Depth=1
	v_cvt_f32_u32_e32 v4, s24
	v_cvt_f32_u32_e32 v7, s25
	s_sub_u32 s2, 0, s24
	s_subb_u32 s26, 0, s25
	s_delay_alu instid0(VALU_DEP_1) | instskip(NEXT) | instid1(VALU_DEP_1)
	v_fmac_f32_e32 v4, 0x4f800000, v7
	v_rcp_f32_e32 v4, v4
	s_waitcnt_depctr 0xfff
	v_mul_f32_e32 v4, 0x5f7ffffc, v4
	s_delay_alu instid0(VALU_DEP_1) | instskip(NEXT) | instid1(VALU_DEP_1)
	v_mul_f32_e32 v7, 0x2f800000, v4
	v_trunc_f32_e32 v7, v7
	s_delay_alu instid0(VALU_DEP_1) | instskip(SKIP_1) | instid1(VALU_DEP_2)
	v_fmac_f32_e32 v4, 0xcf800000, v7
	v_cvt_u32_f32_e32 v7, v7
	v_cvt_u32_f32_e32 v4, v4
	s_delay_alu instid0(VALU_DEP_2) | instskip(NEXT) | instid1(VALU_DEP_2)
	v_mul_lo_u32 v8, s2, v7
	v_mul_hi_u32 v9, s2, v4
	v_mul_lo_u32 v10, s26, v4
	s_delay_alu instid0(VALU_DEP_2) | instskip(SKIP_1) | instid1(VALU_DEP_2)
	v_add_nc_u32_e32 v8, v9, v8
	v_mul_lo_u32 v9, s2, v4
	v_add_nc_u32_e32 v8, v8, v10
	s_delay_alu instid0(VALU_DEP_2) | instskip(NEXT) | instid1(VALU_DEP_2)
	v_mul_hi_u32 v10, v4, v9
	v_mul_lo_u32 v11, v4, v8
	v_mul_hi_u32 v12, v4, v8
	v_mul_hi_u32 v13, v7, v9
	v_mul_lo_u32 v9, v7, v9
	v_mul_hi_u32 v14, v7, v8
	v_mul_lo_u32 v8, v7, v8
	v_add_co_u32 v10, vcc_lo, v10, v11
	v_add_co_ci_u32_e32 v11, vcc_lo, 0, v12, vcc_lo
	s_delay_alu instid0(VALU_DEP_2) | instskip(NEXT) | instid1(VALU_DEP_2)
	v_add_co_u32 v9, vcc_lo, v10, v9
	v_add_co_ci_u32_e32 v9, vcc_lo, v11, v13, vcc_lo
	v_add_co_ci_u32_e32 v10, vcc_lo, 0, v14, vcc_lo
	s_delay_alu instid0(VALU_DEP_2) | instskip(NEXT) | instid1(VALU_DEP_2)
	v_add_co_u32 v8, vcc_lo, v9, v8
	v_add_co_ci_u32_e32 v9, vcc_lo, 0, v10, vcc_lo
	s_delay_alu instid0(VALU_DEP_2) | instskip(NEXT) | instid1(VALU_DEP_2)
	v_add_co_u32 v4, vcc_lo, v4, v8
	v_add_co_ci_u32_e32 v7, vcc_lo, v7, v9, vcc_lo
	s_delay_alu instid0(VALU_DEP_2) | instskip(SKIP_1) | instid1(VALU_DEP_3)
	v_mul_hi_u32 v8, s2, v4
	v_mul_lo_u32 v10, s26, v4
	v_mul_lo_u32 v9, s2, v7
	s_delay_alu instid0(VALU_DEP_1) | instskip(SKIP_1) | instid1(VALU_DEP_2)
	v_add_nc_u32_e32 v8, v8, v9
	v_mul_lo_u32 v9, s2, v4
	v_add_nc_u32_e32 v8, v8, v10
	s_delay_alu instid0(VALU_DEP_2) | instskip(NEXT) | instid1(VALU_DEP_2)
	v_mul_hi_u32 v10, v4, v9
	v_mul_lo_u32 v11, v4, v8
	v_mul_hi_u32 v12, v4, v8
	v_mul_hi_u32 v13, v7, v9
	v_mul_lo_u32 v9, v7, v9
	v_mul_hi_u32 v14, v7, v8
	v_mul_lo_u32 v8, v7, v8
	v_add_co_u32 v10, vcc_lo, v10, v11
	v_add_co_ci_u32_e32 v11, vcc_lo, 0, v12, vcc_lo
	s_delay_alu instid0(VALU_DEP_2) | instskip(NEXT) | instid1(VALU_DEP_2)
	v_add_co_u32 v9, vcc_lo, v10, v9
	v_add_co_ci_u32_e32 v9, vcc_lo, v11, v13, vcc_lo
	v_add_co_ci_u32_e32 v10, vcc_lo, 0, v14, vcc_lo
	s_delay_alu instid0(VALU_DEP_2) | instskip(NEXT) | instid1(VALU_DEP_2)
	v_add_co_u32 v8, vcc_lo, v9, v8
	v_add_co_ci_u32_e32 v9, vcc_lo, 0, v10, vcc_lo
	s_delay_alu instid0(VALU_DEP_2) | instskip(NEXT) | instid1(VALU_DEP_2)
	v_add_co_u32 v4, vcc_lo, v4, v8
	v_add_co_ci_u32_e32 v13, vcc_lo, v7, v9, vcc_lo
	s_delay_alu instid0(VALU_DEP_2) | instskip(SKIP_1) | instid1(VALU_DEP_3)
	v_mul_hi_u32 v14, v5, v4
	v_mad_u64_u32 v[9:10], null, v6, v4, 0
	v_mad_u64_u32 v[7:8], null, v5, v13, 0
	;; [unrolled: 1-line block ×3, first 2 shown]
	s_delay_alu instid0(VALU_DEP_2) | instskip(NEXT) | instid1(VALU_DEP_3)
	v_add_co_u32 v4, vcc_lo, v14, v7
	v_add_co_ci_u32_e32 v7, vcc_lo, 0, v8, vcc_lo
	s_delay_alu instid0(VALU_DEP_2) | instskip(NEXT) | instid1(VALU_DEP_2)
	v_add_co_u32 v4, vcc_lo, v4, v9
	v_add_co_ci_u32_e32 v4, vcc_lo, v7, v10, vcc_lo
	v_add_co_ci_u32_e32 v7, vcc_lo, 0, v12, vcc_lo
	s_delay_alu instid0(VALU_DEP_2) | instskip(NEXT) | instid1(VALU_DEP_2)
	v_add_co_u32 v4, vcc_lo, v4, v11
	v_add_co_ci_u32_e32 v9, vcc_lo, 0, v7, vcc_lo
	s_delay_alu instid0(VALU_DEP_2) | instskip(SKIP_1) | instid1(VALU_DEP_3)
	v_mul_lo_u32 v10, s25, v4
	v_mad_u64_u32 v[7:8], null, s24, v4, 0
	v_mul_lo_u32 v11, s24, v9
	s_delay_alu instid0(VALU_DEP_2) | instskip(NEXT) | instid1(VALU_DEP_2)
	v_sub_co_u32 v7, vcc_lo, v5, v7
	v_add3_u32 v8, v8, v11, v10
	s_delay_alu instid0(VALU_DEP_1) | instskip(NEXT) | instid1(VALU_DEP_1)
	v_sub_nc_u32_e32 v10, v6, v8
	v_subrev_co_ci_u32_e64 v10, s2, s25, v10, vcc_lo
	v_add_co_u32 v11, s2, v4, 2
	s_delay_alu instid0(VALU_DEP_1) | instskip(SKIP_3) | instid1(VALU_DEP_3)
	v_add_co_ci_u32_e64 v12, s2, 0, v9, s2
	v_sub_co_u32 v13, s2, v7, s24
	v_sub_co_ci_u32_e32 v8, vcc_lo, v6, v8, vcc_lo
	v_subrev_co_ci_u32_e64 v10, s2, 0, v10, s2
	v_cmp_le_u32_e32 vcc_lo, s24, v13
	s_delay_alu instid0(VALU_DEP_3) | instskip(SKIP_1) | instid1(VALU_DEP_4)
	v_cmp_eq_u32_e64 s2, s25, v8
	v_cndmask_b32_e64 v13, 0, -1, vcc_lo
	v_cmp_le_u32_e32 vcc_lo, s25, v10
	v_cndmask_b32_e64 v14, 0, -1, vcc_lo
	v_cmp_le_u32_e32 vcc_lo, s24, v7
	;; [unrolled: 2-line block ×3, first 2 shown]
	v_cndmask_b32_e64 v15, 0, -1, vcc_lo
	v_cmp_eq_u32_e32 vcc_lo, s25, v10
	s_delay_alu instid0(VALU_DEP_2) | instskip(SKIP_3) | instid1(VALU_DEP_3)
	v_cndmask_b32_e64 v7, v15, v7, s2
	v_cndmask_b32_e32 v10, v14, v13, vcc_lo
	v_add_co_u32 v13, vcc_lo, v4, 1
	v_add_co_ci_u32_e32 v14, vcc_lo, 0, v9, vcc_lo
	v_cmp_ne_u32_e32 vcc_lo, 0, v10
	s_delay_alu instid0(VALU_DEP_2) | instskip(NEXT) | instid1(VALU_DEP_4)
	v_cndmask_b32_e32 v8, v14, v12, vcc_lo
	v_cndmask_b32_e32 v10, v13, v11, vcc_lo
	v_cmp_ne_u32_e32 vcc_lo, 0, v7
	s_delay_alu instid0(VALU_DEP_2)
	v_dual_cndmask_b32 v123, v9, v8 :: v_dual_cndmask_b32 v122, v4, v10
.LBB0_4:                                ;   in Loop: Header=BB0_2 Depth=1
	s_and_not1_saveexec_b32 s2, s3
	s_cbranch_execz .LBB0_6
; %bb.5:                                ;   in Loop: Header=BB0_2 Depth=1
	v_cvt_f32_u32_e32 v4, s24
	s_sub_i32 s3, 0, s24
	v_mov_b32_e32 v123, v3
	s_delay_alu instid0(VALU_DEP_2) | instskip(SKIP_2) | instid1(VALU_DEP_1)
	v_rcp_iflag_f32_e32 v4, v4
	s_waitcnt_depctr 0xfff
	v_mul_f32_e32 v4, 0x4f7ffffe, v4
	v_cvt_u32_f32_e32 v4, v4
	s_delay_alu instid0(VALU_DEP_1) | instskip(NEXT) | instid1(VALU_DEP_1)
	v_mul_lo_u32 v7, s3, v4
	v_mul_hi_u32 v7, v4, v7
	s_delay_alu instid0(VALU_DEP_1) | instskip(NEXT) | instid1(VALU_DEP_1)
	v_add_nc_u32_e32 v4, v4, v7
	v_mul_hi_u32 v4, v5, v4
	s_delay_alu instid0(VALU_DEP_1) | instskip(SKIP_1) | instid1(VALU_DEP_2)
	v_mul_lo_u32 v7, v4, s24
	v_add_nc_u32_e32 v8, 1, v4
	v_sub_nc_u32_e32 v7, v5, v7
	s_delay_alu instid0(VALU_DEP_1) | instskip(SKIP_1) | instid1(VALU_DEP_2)
	v_subrev_nc_u32_e32 v9, s24, v7
	v_cmp_le_u32_e32 vcc_lo, s24, v7
	v_dual_cndmask_b32 v7, v7, v9 :: v_dual_cndmask_b32 v4, v4, v8
	s_delay_alu instid0(VALU_DEP_1) | instskip(NEXT) | instid1(VALU_DEP_2)
	v_cmp_le_u32_e32 vcc_lo, s24, v7
	v_add_nc_u32_e32 v8, 1, v4
	s_delay_alu instid0(VALU_DEP_1)
	v_cndmask_b32_e32 v122, v4, v8, vcc_lo
.LBB0_6:                                ;   in Loop: Header=BB0_2 Depth=1
	s_or_b32 exec_lo, exec_lo, s2
	s_delay_alu instid0(VALU_DEP_1) | instskip(NEXT) | instid1(VALU_DEP_2)
	v_mul_lo_u32 v4, v123, s24
	v_mul_lo_u32 v9, v122, s25
	s_load_b64 s[2:3], s[14:15], 0x0
	v_mad_u64_u32 v[7:8], null, v122, s24, 0
	s_load_b64 s[24:25], s[12:13], 0x0
	s_add_u32 s22, s22, 1
	s_addc_u32 s23, s23, 0
	s_add_u32 s12, s12, 8
	s_addc_u32 s13, s13, 0
	s_add_u32 s14, s14, 8
	s_delay_alu instid0(VALU_DEP_1) | instskip(SKIP_3) | instid1(VALU_DEP_2)
	v_add3_u32 v4, v8, v9, v4
	v_sub_co_u32 v8, vcc_lo, v5, v7
	s_addc_u32 s15, s15, 0
	s_add_u32 s20, s20, 8
	v_sub_co_ci_u32_e32 v6, vcc_lo, v6, v4, vcc_lo
	s_addc_u32 s21, s21, 0
	s_waitcnt lgkmcnt(0)
	s_delay_alu instid0(VALU_DEP_1)
	v_mul_lo_u32 v9, s2, v6
	v_mul_lo_u32 v10, s3, v8
	v_mad_u64_u32 v[4:5], null, s2, v8, v[1:2]
	v_mul_lo_u32 v11, s24, v6
	v_mul_lo_u32 v12, s25, v8
	v_mad_u64_u32 v[6:7], null, s24, v8, v[118:119]
	v_cmp_ge_u64_e64 s2, s[22:23], s[10:11]
	v_add3_u32 v2, v10, v5, v9
	s_delay_alu instid0(VALU_DEP_3) | instskip(NEXT) | instid1(VALU_DEP_4)
	v_dual_mov_b32 v1, v4 :: v_dual_mov_b32 v118, v6
	v_add3_u32 v119, v12, v7, v11
	s_delay_alu instid0(VALU_DEP_4)
	s_and_b32 vcc_lo, exec_lo, s2
	s_cbranch_vccnz .LBB0_9
; %bb.7:                                ;   in Loop: Header=BB0_2 Depth=1
	v_dual_mov_b32 v5, v122 :: v_dual_mov_b32 v6, v123
	s_branch .LBB0_2
.LBB0_8:
	v_dual_mov_b32 v119, v2 :: v_dual_mov_b32 v118, v1
	v_dual_mov_b32 v123, v6 :: v_dual_mov_b32 v122, v5
.LBB0_9:
	s_load_b64 s[0:1], s[0:1], 0x28
	v_mul_hi_u32 v3, 0x3291620, v0
	s_lshl_b64 s[10:11], s[10:11], 3
                                        ; implicit-def: $vgpr116
                                        ; implicit-def: $vgpr120
                                        ; implicit-def: $vgpr131
                                        ; implicit-def: $vgpr130
                                        ; implicit-def: $vgpr129
                                        ; implicit-def: $vgpr128
                                        ; implicit-def: $vgpr127
                                        ; implicit-def: $vgpr126
                                        ; implicit-def: $vgpr125
                                        ; implicit-def: $vgpr124
	s_delay_alu instid0(SALU_CYCLE_1) | instskip(SKIP_4) | instid1(VALU_DEP_1)
	s_add_u32 s2, s18, s10
	s_addc_u32 s3, s19, s11
	s_waitcnt lgkmcnt(0)
	v_cmp_gt_u64_e32 vcc_lo, s[0:1], v[122:123]
	v_cmp_le_u64_e64 s0, s[0:1], v[122:123]
	s_and_saveexec_b32 s1, s0
	s_delay_alu instid0(SALU_CYCLE_1)
	s_xor_b32 s0, exec_lo, s1
; %bb.10:
	v_mul_u32_u24_e32 v1, 0x51, v3
                                        ; implicit-def: $vgpr3
	s_delay_alu instid0(VALU_DEP_1) | instskip(NEXT) | instid1(VALU_DEP_1)
	v_sub_nc_u32_e32 v116, v0, v1
                                        ; implicit-def: $vgpr0
                                        ; implicit-def: $vgpr1_vgpr2
	v_add_nc_u32_e32 v120, 0x51, v116
	v_add_nc_u32_e32 v131, 0xa2, v116
	;; [unrolled: 1-line block ×9, first 2 shown]
; %bb.11:
	s_and_not1_saveexec_b32 s1, s0
	s_cbranch_execz .LBB0_13
; %bb.12:
	s_add_u32 s10, s16, s10
	s_addc_u32 s11, s17, s11
	v_lshlrev_b64 v[1:2], 4, v[1:2]
	s_load_b64 s[10:11], s[10:11], 0x0
	s_waitcnt lgkmcnt(0)
	v_mul_lo_u32 v6, s11, v122
	v_mul_lo_u32 v7, s10, v123
	v_mad_u64_u32 v[4:5], null, s10, v122, 0
	s_delay_alu instid0(VALU_DEP_1) | instskip(SKIP_1) | instid1(VALU_DEP_2)
	v_add3_u32 v5, v5, v7, v6
	v_mul_u32_u24_e32 v6, 0x51, v3
	v_lshlrev_b64 v[3:4], 4, v[4:5]
	s_delay_alu instid0(VALU_DEP_2) | instskip(NEXT) | instid1(VALU_DEP_1)
	v_sub_nc_u32_e32 v116, v0, v6
	v_lshlrev_b32_e32 v117, 4, v116
	s_delay_alu instid0(VALU_DEP_3) | instskip(NEXT) | instid1(VALU_DEP_1)
	v_add_co_u32 v0, s0, s4, v3
	v_add_co_ci_u32_e64 v3, s0, s5, v4, s0
	v_add_nc_u32_e32 v131, 0xa2, v116
	s_delay_alu instid0(VALU_DEP_3) | instskip(NEXT) | instid1(VALU_DEP_1)
	v_add_co_u32 v0, s0, v0, v1
	v_add_co_ci_u32_e64 v1, s0, v3, v2, s0
	v_add_nc_u32_e32 v130, 0xf3, v116
	s_delay_alu instid0(VALU_DEP_3) | instskip(NEXT) | instid1(VALU_DEP_1)
	v_add_co_u32 v32, s0, v0, v117
	v_add_co_ci_u32_e64 v33, s0, 0, v1, s0
	s_clause 0x3
	global_load_b128 v[0:3], v[32:33], off
	global_load_b128 v[4:7], v[32:33], off offset:1296
	global_load_b128 v[8:11], v[32:33], off offset:2592
	;; [unrolled: 1-line block ×3, first 2 shown]
	v_add_co_u32 v24, s0, 0x1000, v32
	s_delay_alu instid0(VALU_DEP_1) | instskip(SKIP_1) | instid1(VALU_DEP_1)
	v_add_co_ci_u32_e64 v25, s0, 0, v33, s0
	v_add_co_u32 v36, s0, 0x2000, v32
	v_add_co_ci_u32_e64 v37, s0, 0, v33, s0
	v_add_co_u32 v48, s0, 0x3000, v32
	s_delay_alu instid0(VALU_DEP_1) | instskip(SKIP_1) | instid1(VALU_DEP_1)
	v_add_co_ci_u32_e64 v49, s0, 0, v33, s0
	v_add_co_u32 v60, s0, 0x4000, v32
	v_add_co_ci_u32_e64 v61, s0, 0, v33, s0
	;; [unrolled: 5-line block ×4, first 2 shown]
	v_add_co_u32 v120, s0, 0x9000, v32
	s_clause 0x3
	global_load_b128 v[16:19], v[24:25], off offset:1088
	global_load_b128 v[20:23], v[24:25], off offset:2384
	;; [unrolled: 1-line block ×4, first 2 shown]
	v_add_co_ci_u32_e64 v121, s0, 0, v33, s0
	s_clause 0x15
	global_load_b128 v[32:35], v[36:37], off offset:2176
	global_load_b128 v[36:39], v[36:37], off offset:3472
	;; [unrolled: 1-line block ×22, first 2 shown]
	v_add_nc_u32_e32 v120, 0x51, v116
	v_add_nc_u32_e32 v129, 0x144, v116
	;; [unrolled: 1-line block ×8, first 2 shown]
	s_waitcnt vmcnt(29)
	ds_store_b128 v117, v[0:3]
	s_waitcnt vmcnt(28)
	ds_store_b128 v117, v[4:7] offset:1296
	s_waitcnt vmcnt(27)
	ds_store_b128 v117, v[8:11] offset:2592
	s_waitcnt vmcnt(26)
	ds_store_b128 v117, v[12:15] offset:3888
	s_waitcnt vmcnt(25)
	ds_store_b128 v117, v[16:19] offset:5184
	s_waitcnt vmcnt(24)
	ds_store_b128 v117, v[20:23] offset:6480
	s_waitcnt vmcnt(23)
	ds_store_b128 v117, v[24:27] offset:7776
	s_waitcnt vmcnt(22)
	ds_store_b128 v117, v[28:31] offset:9072
	s_waitcnt vmcnt(21)
	ds_store_b128 v117, v[32:35] offset:10368
	s_waitcnt vmcnt(20)
	ds_store_b128 v117, v[36:39] offset:11664
	s_waitcnt vmcnt(19)
	ds_store_b128 v117, v[40:43] offset:12960
	s_waitcnt vmcnt(18)
	ds_store_b128 v117, v[44:47] offset:14256
	s_waitcnt vmcnt(17)
	ds_store_b128 v117, v[48:51] offset:15552
	s_waitcnt vmcnt(16)
	ds_store_b128 v117, v[52:55] offset:16848
	s_waitcnt vmcnt(15)
	ds_store_b128 v117, v[56:59] offset:18144
	s_waitcnt vmcnt(14)
	ds_store_b128 v117, v[60:63] offset:19440
	s_waitcnt vmcnt(13)
	ds_store_b128 v117, v[64:67] offset:20736
	s_waitcnt vmcnt(12)
	ds_store_b128 v117, v[68:71] offset:22032
	s_waitcnt vmcnt(11)
	ds_store_b128 v117, v[72:75] offset:23328
	s_waitcnt vmcnt(10)
	ds_store_b128 v117, v[76:79] offset:24624
	s_waitcnt vmcnt(9)
	ds_store_b128 v117, v[80:83] offset:25920
	s_waitcnt vmcnt(8)
	ds_store_b128 v117, v[84:87] offset:27216
	s_waitcnt vmcnt(7)
	ds_store_b128 v117, v[88:91] offset:28512
	s_waitcnt vmcnt(6)
	ds_store_b128 v117, v[92:95] offset:29808
	s_waitcnt vmcnt(5)
	ds_store_b128 v117, v[96:99] offset:31104
	s_waitcnt vmcnt(4)
	ds_store_b128 v117, v[100:103] offset:32400
	s_waitcnt vmcnt(3)
	ds_store_b128 v117, v[104:107] offset:33696
	s_waitcnt vmcnt(2)
	ds_store_b128 v117, v[108:111] offset:34992
	s_waitcnt vmcnt(1)
	ds_store_b128 v117, v[112:115] offset:36288
	s_waitcnt vmcnt(0)
	ds_store_b128 v117, v[132:135] offset:37584
.LBB0_13:
	s_or_b32 exec_lo, exec_lo, s1
	v_lshlrev_b32_e32 v117, 4, v116
	s_load_b64 s[2:3], s[2:3], 0x0
	s_waitcnt lgkmcnt(0)
	s_barrier
	buffer_gl0_inv
	v_add_nc_u32_e32 v148, 0, v117
	s_mov_b32 s14, 0x134454ff
	s_mov_b32 s15, 0xbfee6f0e
	s_mov_b32 s1, 0x3fee6f0e
	s_mov_b32 s0, s14
	ds_load_b128 v[4:7], v148 offset:7776
	ds_load_b128 v[0:3], v148
	ds_load_b128 v[12:15], v148 offset:11664
	ds_load_b128 v[20:23], v148 offset:3888
	;; [unrolled: 1-line block ×28, first 2 shown]
	s_mov_b32 s12, 0x4755a5e
	s_mov_b32 s13, 0xbfe2cf23
	;; [unrolled: 1-line block ×12, first 2 shown]
	s_waitcnt lgkmcnt(28)
	v_add_f64 v[40:41], v[0:1], v[4:5]
	v_add_f64 v[42:43], v[2:3], v[6:7]
	s_waitcnt lgkmcnt(26)
	v_add_f64 v[140:141], v[20:21], v[12:13]
	v_add_f64 v[142:143], v[22:23], v[14:15]
	s_waitcnt lgkmcnt(21)
	v_add_f64 v[149:150], v[24:25], v[44:45]
	s_waitcnt lgkmcnt(17)
	v_add_f64 v[153:154], v[4:5], v[56:57]
	v_add_f64 v[155:156], v[26:27], v[46:47]
	;; [unrolled: 1-line block ×3, first 2 shown]
	s_waitcnt lgkmcnt(3)
	v_add_f64 v[197:198], v[104:105], v[112:113]
	s_waitcnt lgkmcnt(1)
	v_add_f64 v[199:200], v[96:97], v[136:137]
	v_add_f64 v[159:160], v[26:27], -v[46:47]
	v_add_f64 v[167:168], v[66:67], v[74:75]
	v_add_f64 v[173:174], v[14:15], v[82:83]
	v_add_f64 v[177:178], v[36:37], v[32:33]
	v_add_f64 v[179:180], v[8:9], v[60:61]
	v_add_f64 v[181:182], v[38:39], v[34:35]
	v_add_f64 v[183:184], v[10:11], v[62:63]
	v_add_f64 v[193:194], v[88:89], v[96:97]
	v_add_f64 v[195:196], v[90:91], v[98:99]
	v_add_f64 v[144:145], v[16:17], v[8:9]
	v_add_f64 v[146:147], v[18:19], v[10:11]
	v_add_f64 v[151:152], v[6:7], -v[58:59]
	v_add_f64 v[161:162], v[4:5], -v[24:25]
	;; [unrolled: 1-line block ×4, first 2 shown]
	v_add_f64 v[169:170], v[64:65], v[72:73]
	v_add_f64 v[171:172], v[12:13], v[80:81]
	v_add_f64 v[175:176], v[44:45], -v[56:57]
	v_add_f64 v[185:186], v[6:7], -v[26:27]
	;; [unrolled: 1-line block ×5, first 2 shown]
	v_add_f64 v[205:206], v[52:53], v[84:85]
	v_add_f64 v[217:218], v[68:69], -v[52:53]
	v_add_f64 v[223:224], v[52:53], -v[84:85]
	;; [unrolled: 1-line block ×3, first 2 shown]
	v_add_f64 v[203:204], v[68:69], v[76:77]
	v_add_f64 v[219:220], v[54:55], -v[70:71]
	v_add_f64 v[40:41], v[40:41], v[24:25]
	v_add_f64 v[42:43], v[42:43], v[26:27]
	;; [unrolled: 1-line block ×4, first 2 shown]
	v_fma_f64 v[149:150], v[149:150], -0.5, v[0:1]
	v_fma_f64 v[0:1], v[153:154], -0.5, v[0:1]
	;; [unrolled: 1-line block ×4, first 2 shown]
	v_add_f64 v[155:156], v[70:71], v[78:79]
	v_add_f64 v[157:158], v[54:55], v[86:87]
	v_fma_f64 v[197:198], v[197:198], -0.5, v[88:89]
	v_fma_f64 v[88:89], v[199:200], -0.5, v[88:89]
	v_add_f64 v[199:200], v[50:51], v[54:55]
	v_add_f64 v[24:25], v[24:25], -v[44:45]
	v_add_f64 v[26:27], v[58:59], -v[46:47]
	v_fma_f64 v[167:168], v[167:168], -0.5, v[22:23]
	v_fma_f64 v[22:23], v[173:174], -0.5, v[22:23]
	v_add_f64 v[173:174], v[80:81], -v[72:73]
	v_fma_f64 v[177:178], v[177:178], -0.5, v[16:17]
	v_fma_f64 v[179:180], v[179:180], -0.5, v[16:17]
	;; [unrolled: 1-line block ×4, first 2 shown]
	v_add_f64 v[16:17], v[72:73], -v[80:81]
	v_add_f64 v[18:19], v[82:83], -v[74:75]
	v_add_f64 v[161:162], v[161:162], v[163:164]
	v_fma_f64 v[169:170], v[169:170], -0.5, v[20:21]
	v_fma_f64 v[20:21], v[171:172], -0.5, v[20:21]
	v_add_f64 v[171:172], v[14:15], -v[66:67]
	v_add_f64 v[66:67], v[66:67], -v[14:15]
	;; [unrolled: 1-line block ×3, first 2 shown]
	v_add_f64 v[6:7], v[6:7], v[187:188]
	v_add_f64 v[221:222], v[54:55], -v[86:87]
	v_fma_f64 v[205:206], v[205:206], -0.5, v[48:49]
	v_add_f64 v[144:145], v[144:145], v[36:37]
	v_add_f64 v[146:147], v[146:147], v[38:39]
	;; [unrolled: 1-line block ×3, first 2 shown]
	v_fma_f64 v[203:204], v[203:204], -0.5, v[48:49]
	v_add_f64 v[201:202], v[98:99], v[138:139]
	v_add_f64 v[40:41], v[40:41], v[44:45]
	;; [unrolled: 1-line block ×3, first 2 shown]
	v_add_f64 v[44:45], v[12:13], -v[64:65]
	v_add_f64 v[46:47], v[64:65], -v[12:13]
	;; [unrolled: 1-line block ×3, first 2 shown]
	v_add_f64 v[140:141], v[140:141], v[72:73]
	v_add_f64 v[142:143], v[142:143], v[74:75]
	v_add_f64 v[72:73], v[74:75], -v[82:83]
	v_add_f64 v[74:75], v[193:194], v[104:105]
	v_add_f64 v[193:194], v[195:196], v[106:107]
	;; [unrolled: 1-line block ×3, first 2 shown]
	v_fma_f64 v[155:156], v[155:156], -0.5, v[50:51]
	v_fma_f64 v[157:158], v[157:158], -0.5, v[50:51]
	v_add_f64 v[50:51], v[199:200], v[70:71]
	v_add_f64 v[199:200], v[52:53], -v[68:69]
	v_fma_f64 v[52:53], v[159:160], s[0:1], v[0:1]
	v_fma_f64 v[0:1], v[159:160], s[14:15], v[0:1]
	v_add_f64 v[163:164], v[185:186], v[26:27]
	v_add_f64 v[26:27], v[165:166], v[175:176]
	v_add_f64 v[12:13], v[12:13], -v[80:81]
	v_add_f64 v[207:208], v[8:9], -v[36:37]
	;; [unrolled: 1-line block ×7, first 2 shown]
	v_add_f64 v[165:166], v[92:93], v[100:101]
	v_add_f64 v[18:19], v[171:172], v[18:19]
	v_add_f64 v[215:216], v[98:99], -v[106:107]
	v_add_f64 v[175:176], v[100:101], -v[108:109]
	;; [unrolled: 1-line block ×4, first 2 shown]
	s_waitcnt lgkmcnt(0)
	v_add_f64 v[144:145], v[144:145], v[32:33]
	v_add_f64 v[146:147], v[146:147], v[34:35]
	v_fma_f64 v[191:192], v[191:192], -0.5, v[90:91]
	s_barrier
	v_fma_f64 v[90:91], v[201:202], -0.5, v[90:91]
	v_add_f64 v[201:202], v[38:39], -v[34:35]
	v_add_f64 v[40:41], v[40:41], v[56:57]
	v_add_f64 v[44:45], v[44:45], v[173:174]
	;; [unrolled: 1-line block ×4, first 2 shown]
	v_add_f64 v[56:57], v[10:11], -v[38:39]
	v_add_f64 v[38:39], v[38:39], -v[10:11]
	v_add_f64 v[46:47], v[66:67], v[72:73]
	v_add_f64 v[58:59], v[10:11], -v[62:63]
	v_add_f64 v[10:11], v[142:143], v[82:83]
	v_add_f64 v[48:49], v[195:196], v[68:69]
	v_add_f64 v[195:196], v[70:71], -v[78:79]
	v_add_f64 v[70:71], v[70:71], -v[54:55]
	v_add_f64 v[50:51], v[50:51], v[78:79]
	v_add_f64 v[8:9], v[140:141], v[80:81]
	v_fma_f64 v[52:53], v[151:152], s[12:13], v[52:53]
	v_fma_f64 v[0:1], v[151:152], s[4:5], v[0:1]
	v_add_f64 v[80:81], v[32:33], -v[60:61]
	v_add_f64 v[82:83], v[62:63], -v[34:35]
	;; [unrolled: 1-line block ×3, first 2 shown]
	v_add_f64 v[32:33], v[74:75], v[112:113]
	v_add_f64 v[34:35], v[193:194], v[114:115]
	v_add_f64 v[78:79], v[78:79], -v[86:87]
	v_add_f64 v[142:143], v[106:107], -v[114:115]
	;; [unrolled: 1-line block ×9, first 2 shown]
	buffer_gl0_inv
	v_add_f64 v[60:61], v[144:145], v[60:61]
	v_add_f64 v[62:63], v[146:147], v[62:63]
	v_add_f64 v[144:145], v[96:97], -v[104:105]
	v_add_f64 v[146:147], v[104:105], -v[96:97]
	v_add_f64 v[104:105], v[104:105], -v[112:113]
	v_add_f64 v[96:97], v[96:97], -v[136:137]
	v_add_f64 v[112:113], v[112:113], -v[136:137]
	v_add_f64 v[48:49], v[48:49], v[76:77]
	v_add_f64 v[76:77], v[76:77], -v[84:85]
	v_fma_f64 v[52:53], v[26:27], s[10:11], v[52:53]
	v_fma_f64 v[66:67], v[26:27], s[10:11], v[0:1]
	v_fma_f64 v[0:1], v[24:25], s[14:15], v[2:3]
	v_fma_f64 v[2:3], v[24:25], s[0:1], v[2:3]
	v_fma_f64 v[26:27], v[151:152], s[0:1], v[149:150]
	v_add_f64 v[136:137], v[32:33], v[136:137]
	v_add_f64 v[138:139], v[34:35], v[138:139]
	;; [unrolled: 1-line block ×7, first 2 shown]
	v_fma_f64 v[140:141], v[68:69], s[14:15], v[157:158]
	v_fma_f64 v[157:158], v[68:69], s[0:1], v[157:158]
	v_add_f64 v[74:75], v[144:145], v[74:75]
	v_add_f64 v[144:145], v[28:29], -v[132:133]
	v_add_f64 v[112:113], v[146:147], v[112:113]
	v_add_f64 v[187:188], v[48:49], v[84:85]
	;; [unrolled: 1-line block ×3, first 2 shown]
	v_fma_f64 v[0:1], v[4:5], s[4:5], v[0:1]
	v_fma_f64 v[2:3], v[4:5], s[12:13], v[2:3]
	;; [unrolled: 1-line block ×4, first 2 shown]
	v_add_f64 v[144:145], v[175:176], v[144:145]
	v_fma_f64 v[175:176], v[223:224], s[0:1], v[155:156]
	v_fma_f64 v[54:55], v[6:7], s[10:11], v[0:1]
	;; [unrolled: 1-line block ×15, first 2 shown]
	v_add_f64 v[169:170], v[108:109], v[132:133]
	v_fma_f64 v[6:7], v[16:17], s[10:11], v[6:7]
	v_fma_f64 v[16:17], v[16:17], s[10:11], v[20:21]
	;; [unrolled: 1-line block ×8, first 2 shown]
	v_add_f64 v[167:168], v[94:95], v[102:103]
	v_fma_f64 v[20:21], v[64:65], s[4:5], v[20:21]
	v_fma_f64 v[12:13], v[64:65], s[12:13], v[12:13]
	;; [unrolled: 1-line block ×4, first 2 shown]
	s_delay_alu instid0(VALU_DEP_4) | instskip(NEXT) | instid1(VALU_DEP_4)
	v_fma_f64 v[20:21], v[18:19], s[10:11], v[20:21]
	v_fma_f64 v[18:19], v[18:19], s[10:11], v[12:13]
	s_delay_alu instid0(VALU_DEP_4) | instskip(NEXT) | instid1(VALU_DEP_4)
	v_fma_f64 v[64:65], v[44:45], s[10:11], v[64:65]
	v_fma_f64 v[84:85], v[163:164], s[10:11], v[171:172]
	;; [unrolled: 1-line block ×3, first 2 shown]
	v_mul_f64 v[149:150], v[20:21], s[12:13]
	s_delay_alu instid0(VALU_DEP_1) | instskip(SKIP_1) | instid1(VALU_DEP_1)
	v_fma_f64 v[149:150], v[64:65], s[18:19], v[149:150]
	v_mul_f64 v[64:65], v[64:65], s[4:5]
	v_fma_f64 v[20:21], v[20:21], s[18:19], v[64:65]
	v_mul_f64 v[64:65], v[0:1], s[14:15]
	v_mul_f64 v[0:1], v[0:1], s[10:11]
	s_delay_alu instid0(VALU_DEP_2) | instskip(NEXT) | instid1(VALU_DEP_2)
	v_fma_f64 v[64:65], v[6:7], s[10:11], v[64:65]
	v_fma_f64 v[151:152], v[6:7], s[0:1], v[0:1]
	v_mul_f64 v[0:1], v[2:3], s[14:15]
	v_mul_f64 v[2:3], v[2:3], s[16:17]
	s_delay_alu instid0(VALU_DEP_4) | instskip(SKIP_1) | instid1(VALU_DEP_4)
	v_add_f64 v[48:49], v[52:53], v[64:65]
	v_add_f64 v[12:13], v[52:53], -v[64:65]
	v_fma_f64 v[153:154], v[16:17], s[16:17], v[0:1]
	s_delay_alu instid0(VALU_DEP_4)
	v_fma_f64 v[16:17], v[16:17], s[0:1], v[2:3]
	v_fma_f64 v[0:1], v[159:160], s[12:13], v[22:23]
	;; [unrolled: 1-line block ×5, first 2 shown]
	v_add_f64 v[189:190], v[50:51], v[86:87]
	v_add_f64 v[26:27], v[42:43], v[10:11]
	;; [unrolled: 1-line block ×3, first 2 shown]
	v_add_f64 v[14:15], v[54:55], -v[151:152]
	v_add_f64 v[86:87], v[102:103], v[30:31]
	v_add_f64 v[64:65], v[110:111], -v[102:103]
	v_add_f64 v[24:25], v[40:41], v[8:9]
	;; [unrolled: 2-line block ×3, first 2 shown]
	v_add_f64 v[54:55], v[72:73], v[16:17]
	v_fma_f64 v[6:7], v[161:162], s[10:11], v[0:1]
	v_fma_f64 v[22:23], v[163:164], s[10:11], v[2:3]
	v_add_f64 v[2:3], v[42:43], -v[10:11]
	v_add_f64 v[10:11], v[72:73], -v[16:17]
	v_add_f64 v[16:17], v[110:111], v[134:135]
	v_fma_f64 v[44:45], v[44:45], s[10:11], v[46:47]
	v_mul_f64 v[46:47], v[18:19], s[12:13]
	v_mul_f64 v[18:19], v[18:19], s[20:21]
	v_add_f64 v[72:73], v[100:101], v[28:29]
	v_add_f64 v[42:43], v[102:103], -v[110:111]
	v_add_f64 v[102:103], v[102:103], -v[30:31]
	;; [unrolled: 1-line block ×3, first 2 shown]
	v_add_f64 v[40:41], v[167:168], v[110:111]
	v_fma_f64 v[110:111], v[96:97], s[14:15], v[191:192]
	v_add_f64 v[8:9], v[66:67], -v[153:154]
	v_fma_f64 v[66:67], v[161:162], s[10:11], v[159:160]
	v_fma_f64 v[161:162], v[98:99], s[0:1], v[197:198]
	;; [unrolled: 1-line block ×3, first 2 shown]
	v_add_f64 v[32:33], v[6:7], v[149:150]
	v_add_f64 v[34:35], v[22:23], v[20:21]
	v_add_f64 v[4:5], v[6:7], -v[149:150]
	v_add_f64 v[6:7], v[22:23], -v[20:21]
	;; [unrolled: 1-line block ×3, first 2 shown]
	v_add_f64 v[22:23], v[165:166], v[108:109]
	v_fma_f64 v[46:47], v[44:45], s[20:21], v[46:47]
	v_fma_f64 v[44:45], v[44:45], s[4:5], v[18:19]
	v_fma_f64 v[16:17], v[16:17], -0.5, v[94:95]
	v_fma_f64 v[108:109], v[169:170], -0.5, v[92:93]
	;; [unrolled: 1-line block ×4, first 2 shown]
	v_add_f64 v[94:95], v[100:101], -v[28:29]
	v_fma_f64 v[100:101], v[104:105], s[14:15], v[90:91]
	v_fma_f64 v[90:91], v[104:105], s[0:1], v[90:91]
	;; [unrolled: 1-line block ×4, first 2 shown]
	v_add_f64 v[149:150], v[215:216], v[193:194]
	v_add_f64 v[42:43], v[42:43], v[151:152]
	v_fma_f64 v[151:152], v[142:143], s[0:1], v[88:89]
	v_fma_f64 v[88:89], v[142:143], s[14:15], v[88:89]
	v_add_f64 v[40:41], v[40:41], v[134:135]
	v_fma_f64 v[165:166], v[36:37], s[0:1], v[183:184]
	v_fma_f64 v[169:170], v[211:212], s[14:15], v[181:182]
	;; [unrolled: 3-line block ×3, first 2 shown]
	v_fma_f64 v[153:154], v[20:21], s[14:15], v[72:73]
	v_fma_f64 v[72:73], v[20:21], s[0:1], v[72:73]
	;; [unrolled: 1-line block ×7, first 2 shown]
	v_add_f64 v[110:111], v[134:135], -v[30:31]
	v_fma_f64 v[159:160], v[94:95], s[14:15], v[16:17]
	v_fma_f64 v[92:93], v[142:143], s[12:13], v[92:93]
	;; [unrolled: 1-line block ×6, first 2 shown]
	v_add_f64 v[16:17], v[66:67], v[46:47]
	v_add_f64 v[30:31], v[40:41], v[30:31]
	v_fma_f64 v[108:109], v[173:174], s[4:5], v[108:109]
	v_fma_f64 v[72:73], v[94:95], s[12:13], v[72:73]
	;; [unrolled: 1-line block ×6, first 2 shown]
	v_add_f64 v[114:115], v[132:133], -v[28:29]
	v_fma_f64 v[132:133], v[173:174], s[0:1], v[18:19]
	v_add_f64 v[64:65], v[64:65], v[110:111]
	v_fma_f64 v[110:111], v[94:95], s[4:5], v[153:154]
	v_fma_f64 v[94:95], v[201:202], s[0:1], v[179:180]
	;; [unrolled: 1-line block ×8, first 2 shown]
	v_add_f64 v[20:21], v[66:67], -v[46:47]
	v_fma_f64 v[66:67], v[142:143], s[4:5], v[161:162]
	v_fma_f64 v[104:105], v[149:150], s[10:11], v[104:105]
	;; [unrolled: 1-line block ×3, first 2 shown]
	v_add_f64 v[46:47], v[207:208], v[213:214]
	v_fma_f64 v[151:152], v[112:113], s[10:11], v[151:152]
	v_fma_f64 v[88:89], v[112:113], s[10:11], v[88:89]
	;; [unrolled: 1-line block ×5, first 2 shown]
	v_add_f64 v[167:168], v[219:220], v[227:228]
	v_add_f64 v[18:19], v[84:85], v[44:45]
	;; [unrolled: 1-line block ×3, first 2 shown]
	v_fma_f64 v[149:150], v[42:43], s[10:11], v[22:23]
	v_fma_f64 v[96:97], v[144:145], s[10:11], v[96:97]
	v_add_f64 v[22:23], v[185:186], v[114:115]
	v_fma_f64 v[114:115], v[195:196], s[0:1], v[205:206]
	v_fma_f64 v[132:133], v[102:103], s[12:13], v[132:133]
	v_fma_f64 v[110:111], v[64:65], s[10:11], v[110:111]
	v_fma_f64 v[102:103], v[102:103], s[4:5], v[134:135]
	v_fma_f64 v[64:65], v[64:65], s[10:11], v[72:73]
	v_fma_f64 v[134:135], v[221:222], s[0:1], v[203:204]
	v_fma_f64 v[72:73], v[58:59], s[12:13], v[94:95]
	v_fma_f64 v[94:95], v[223:224], s[14:15], v[155:156]
	v_fma_f64 v[42:43], v[42:43], s[10:11], v[146:147]
	v_mul_f64 v[82:83], v[86:87], s[12:13]
	v_mul_f64 v[142:143], v[92:93], s[4:5]
	v_fma_f64 v[58:59], v[58:59], s[4:5], v[153:154]
	v_fma_f64 v[146:147], v[211:212], s[4:5], v[159:160]
	v_mul_f64 v[155:156], v[100:101], s[14:15]
	v_mul_f64 v[100:101], v[100:101], s[10:11]
	v_fma_f64 v[153:154], v[211:212], s[12:13], v[165:166]
	v_mul_f64 v[159:160], v[90:91], s[14:15]
	v_mul_f64 v[90:91], v[90:91], s[16:17]
	v_fma_f64 v[106:107], v[201:202], s[4:5], v[106:107]
	v_fma_f64 v[66:67], v[74:75], s[10:11], v[66:67]
	v_mul_f64 v[74:75], v[104:105], s[12:13]
	v_mul_f64 v[104:105], v[104:105], s[20:21]
	v_add_f64 v[165:166], v[199:200], v[225:226]
	v_fma_f64 v[36:37], v[56:57], s[10:11], v[36:37]
	v_mul_f64 v[169:170], v[149:150], s[12:13]
	v_mul_f64 v[173:174], v[96:97], s[4:5]
	v_fma_f64 v[78:79], v[221:222], s[12:13], v[114:115]
	v_fma_f64 v[114:115], v[221:222], s[4:5], v[161:162]
	;; [unrolled: 1-line block ×5, first 2 shown]
	v_mul_f64 v[175:176], v[110:111], s[14:15]
	v_mul_f64 v[110:111], v[110:111], s[10:11]
	v_fma_f64 v[102:103], v[22:23], s[10:11], v[102:103]
	v_mul_f64 v[177:178], v[64:65], s[14:15]
	v_mul_f64 v[64:65], v[64:65], s[16:17]
	v_fma_f64 v[134:135], v[195:196], s[4:5], v[134:135]
	v_fma_f64 v[68:69], v[68:69], s[12:13], v[94:95]
	;; [unrolled: 1-line block ×3, first 2 shown]
	v_mul_f64 v[108:109], v[42:43], s[12:13]
	v_mul_f64 v[42:43], v[42:43], s[20:21]
	v_add_f64 v[22:23], v[84:85], -v[44:45]
	v_fma_f64 v[40:41], v[92:93], s[18:19], v[82:83]
	v_fma_f64 v[44:45], v[86:87], s[18:19], v[142:143]
	v_fma_f64 v[82:83], v[151:152], s[10:11], v[155:156]
	v_fma_f64 v[84:85], v[151:152], s[0:1], v[100:101]
	v_fma_f64 v[86:87], v[80:81], s[10:11], v[72:73]
	v_fma_f64 v[72:73], v[46:47], s[10:11], v[98:99]
	v_fma_f64 v[92:93], v[56:57], s[10:11], v[112:113]
	v_fma_f64 v[98:99], v[80:81], s[10:11], v[58:59]
	v_fma_f64 v[80:81], v[38:39], s[10:11], v[146:147]
	v_fma_f64 v[38:39], v[38:39], s[10:11], v[153:154]
	v_fma_f64 v[100:101], v[88:89], s[16:17], v[159:160]
	v_fma_f64 v[88:89], v[88:89], s[0:1], v[90:91]
	v_fma_f64 v[46:47], v[46:47], s[10:11], v[106:107]
	v_fma_f64 v[106:107], v[66:67], s[20:21], v[74:75]
	v_fma_f64 v[104:105], v[66:67], s[4:5], v[104:105]
	v_fma_f64 v[155:156], v[70:71], s[10:11], v[157:158]
	v_mul_u32_u24_e32 v56, 10, v116
	v_add_f64 v[58:59], v[62:63], v[138:139]
	v_add_f64 v[62:63], v[62:63], -v[138:139]
	v_fma_f64 v[112:113], v[96:97], s[18:19], v[169:170]
	v_fma_f64 v[142:143], v[149:150], s[18:19], v[173:174]
	v_lshl_add_u32 v121, v56, 4, 0
	v_fma_f64 v[153:154], v[76:77], s[10:11], v[78:79]
	v_fma_f64 v[114:115], v[76:77], s[10:11], v[114:115]
	v_fma_f64 v[144:145], v[165:166], s[10:11], v[161:162]
	v_fma_f64 v[146:147], v[167:168], s[10:11], v[171:172]
	v_add_f64 v[56:57], v[60:61], v[136:137]
	v_fma_f64 v[149:150], v[132:133], s[10:11], v[175:176]
	v_fma_f64 v[151:152], v[132:133], s[0:1], v[110:111]
	v_add_f64 v[60:61], v[60:61], -v[136:137]
	v_fma_f64 v[157:158], v[102:103], s[16:17], v[177:178]
	v_fma_f64 v[102:103], v[102:103], s[0:1], v[64:65]
	;; [unrolled: 1-line block ×4, first 2 shown]
	ds_store_b128 v121, v[24:27]
	ds_store_b128 v121, v[32:35] offset:16
	v_fma_f64 v[163:164], v[94:95], s[20:21], v[108:109]
	v_fma_f64 v[165:166], v[94:95], s[4:5], v[42:43]
	v_add_f64 v[24:25], v[187:188], -v[28:29]
	ds_store_b128 v121, v[48:51] offset:32
	ds_store_b128 v121, v[52:55] offset:48
	;; [unrolled: 1-line block ×4, first 2 shown]
	v_add_f64 v[26:27], v[189:190], -v[30:31]
	ds_store_b128 v121, v[4:7] offset:96
	ds_store_b128 v121, v[12:15] offset:112
	v_add_f64 v[76:77], v[86:87], -v[82:83]
	v_add_f64 v[64:65], v[72:73], v[40:41]
	v_add_f64 v[68:69], v[72:73], -v[40:41]
	v_add_f64 v[70:71], v[92:93], -v[44:45]
	v_add_f64 v[72:73], v[86:87], v[82:83]
	v_add_f64 v[74:75], v[80:81], v[84:85]
	v_add_f64 v[78:79], v[80:81], -v[84:85]
	v_add_f64 v[80:81], v[98:99], v[100:101]
	v_add_f64 v[82:83], v[38:39], v[88:89]
	;; [unrolled: 1-line block ×3, first 2 shown]
	v_add_f64 v[85:86], v[98:99], -v[100:101]
	v_add_f64 v[87:88], v[38:39], -v[88:89]
	v_add_f64 v[89:90], v[46:47], v[106:107]
	v_add_f64 v[91:92], v[36:37], v[104:105]
	v_add_f64 v[93:94], v[46:47], -v[106:107]
	v_add_f64 v[95:96], v[36:37], -v[104:105]
	v_add_f64 v[97:98], v[187:188], v[28:29]
	v_add_f64 v[99:100], v[189:190], v[30:31]
	v_mul_i32_i24_e32 v101, 10, v120
	v_and_b32_e32 v84, 0xff, v116
	v_add_f64 v[105:106], v[144:145], v[112:113]
	v_add_f64 v[107:108], v[146:147], v[142:143]
	v_add_f64 v[28:29], v[144:145], -v[112:113]
	v_add_f64 v[109:110], v[153:154], v[149:150]
	v_add_f64 v[111:112], v[140:141], v[151:152]
	v_add_f64 v[40:41], v[153:154], -v[149:150]
	v_add_f64 v[132:133], v[114:115], v[157:158]
	v_add_f64 v[134:135], v[155:156], v[102:103]
	v_lshl_add_u32 v150, v101, 4, 0
	v_mul_lo_u16 v0, 0xcd, v84
	v_add_f64 v[30:31], v[146:147], -v[142:143]
	v_add_f64 v[44:45], v[159:160], v[163:164]
	v_add_f64 v[46:47], v[161:162], v[165:166]
	v_add_f64 v[32:33], v[114:115], -v[157:158]
	v_add_f64 v[34:35], v[155:156], -v[102:103]
	v_add_f64 v[42:43], v[140:141], -v[151:152]
	v_add_f64 v[36:37], v[159:160], -v[163:164]
	v_add_f64 v[38:39], v[161:162], -v[165:166]
	ds_store_b128 v121, v[8:11] offset:128
	ds_store_b128 v121, v[20:23] offset:144
	ds_store_b128 v150, v[56:59]
	ds_store_b128 v150, v[64:67] offset:16
	v_mul_i32_i24_e32 v1, 10, v131
	v_lshrrev_b16 v104, 11, v0
	ds_store_b128 v150, v[72:75] offset:32
	ds_store_b128 v150, v[80:83] offset:48
	;; [unrolled: 1-line block ×8, first 2 shown]
	v_and_b32_e32 v85, 0xff, v120
	v_lshl_add_u32 v149, v1, 4, 0
	v_mul_lo_u16 v0, v104, 10
	ds_store_b128 v149, v[97:100]
	ds_store_b128 v149, v[105:108] offset:16
	ds_store_b128 v149, v[109:112] offset:32
	;; [unrolled: 1-line block ×3, first 2 shown]
	v_mul_lo_u16 v1, 0xcd, v85
	v_sub_nc_u16 v0, v116, v0
	v_and_b32_e32 v164, 0xff, v131
	v_and_b32_e32 v163, 0xffff, v130
	ds_store_b128 v149, v[44:47] offset:64
	ds_store_b128 v149, v[24:27] offset:80
	v_lshrrev_b16 v98, 11, v1
	v_and_b32_e32 v100, 0xff, v0
	v_mul_lo_u16 v0, 0xcd, v164
	v_mul_u32_u24_e32 v5, 0xcccd, v163
	ds_store_b128 v149, v[28:31] offset:96
	ds_store_b128 v149, v[40:43] offset:112
	v_mul_lo_u16 v2, v98, 10
	v_lshlrev_b32_e32 v1, 5, v100
	v_lshrrev_b16 v99, 11, v0
	v_lshrrev_b32_e32 v103, 19, v5
	ds_store_b128 v149, v[32:35] offset:128
	ds_store_b128 v149, v[36:39] offset:144
	v_sub_nc_u16 v0, v120, v2
	s_waitcnt lgkmcnt(0)
	v_mul_lo_u16 v2, v99, 10
	s_barrier
	buffer_gl0_inv
	v_and_b32_e32 v101, 0xff, v0
	global_load_b128 v[80:83], v1, s[8:9]
	v_sub_nc_u16 v4, v131, v2
	v_and_b32_e32 v165, 0xffff, v129
	v_mul_lo_u16 v20, v103, 10
	v_lshlrev_b32_e32 v8, 5, v101
	v_and_b32_e32 v166, 0xffff, v128
	v_and_b32_e32 v102, 0xff, v4
	v_mul_u32_u24_e32 v21, 0xcccd, v165
	v_sub_nc_u16 v20, v130, v20
	s_clause 0x2
	global_load_b128 v[4:7], v8, s[8:9]
	global_load_b128 v[0:3], v1, s[8:9] offset:16
	global_load_b128 v[16:19], v8, s[8:9] offset:16
	v_lshrrev_b32_e32 v93, 19, v21
	v_and_b32_e32 v105, 0xffff, v20
	v_mul_u32_u24_e32 v20, 0xcccd, v166
	v_lshlrev_b32_e32 v9, 5, v102
	s_clause 0x1
	global_load_b128 v[12:15], v9, s[8:9]
	global_load_b128 v[8:11], v9, s[8:9] offset:16
	v_mul_lo_u16 v21, v93, 10
	v_lshrrev_b32_e32 v92, 19, v20
	v_lshlrev_b32_e32 v22, 5, v105
	v_and_b32_e32 v162, 0xffff, v127
	v_and_b32_e32 v161, 0xffff, v126
	v_sub_nc_u16 v20, v129, v21
	v_mul_lo_u16 v21, v92, 10
	s_clause 0x1
	global_load_b128 v[24:27], v22, s[8:9]
	global_load_b128 v[60:63], v22, s[8:9] offset:16
	v_mul_u32_u24_e32 v22, 0xcccd, v162
	v_and_b32_e32 v94, 0xffff, v20
	v_sub_nc_u16 v20, v128, v21
	v_and_b32_e32 v160, 0xffff, v125
	v_and_b32_e32 v159, 0xffff, v124
	v_lshrrev_b32_e32 v95, 19, v22
	v_lshlrev_b32_e32 v21, 5, v94
	v_and_b32_e32 v96, 0xffff, v20
	v_mul_u32_u24_e32 v22, 0xcccd, v161
	v_mul_u32_u24_e32 v33, 0xcccd, v160
	v_lshl_add_u32 v157, v130, 4, 0
	s_clause 0x1
	global_load_b128 v[64:67], v21, s[8:9]
	global_load_b128 v[72:75], v21, s[8:9] offset:16
	v_lshlrev_b32_e32 v20, 5, v96
	v_mul_lo_u16 v21, v95, 10
	v_lshrrev_b32_e32 v86, 19, v22
	v_lshrrev_b32_e32 v89, 19, v33
	v_mul_u32_u24_e32 v33, 0xcccd, v159
	s_clause 0x1
	global_load_b128 v[68:71], v20, s[8:9]
	global_load_b128 v[40:43], v20, s[8:9] offset:16
	v_sub_nc_u16 v21, v127, v21
	v_mul_lo_u16 v34, v89, 10
	v_lshrrev_b32_e32 v88, 19, v33
	v_mad_i32_i24 v158, 0xffffff70, v120, v150
	v_mad_i32_i24 v121, 0xffffff70, v131, v149
	v_and_b32_e32 v97, 0xffff, v21
	v_mul_lo_u16 v21, v86, 10
	v_sub_nc_u16 v33, v125, v34
	v_mul_lo_u16 v34, v88, 10
	v_and_b32_e32 v104, 0xffff, v104
	v_lshlrev_b32_e32 v20, 5, v97
	v_sub_nc_u16 v21, v126, v21
	v_and_b32_e32 v90, 0xffff, v33
	v_sub_nc_u16 v33, v124, v34
	v_mul_u32_u24_e32 v104, 0x1e0, v104
	global_load_b128 v[28:31], v20, s[8:9]
	v_and_b32_e32 v87, 0xffff, v21
	v_lshlrev_b32_e32 v34, 5, v90
	v_and_b32_e32 v91, 0xffff, v33
	v_lshlrev_b32_e32 v100, 4, v100
	s_mov_b32 s4, 0xe8584caa
	v_lshlrev_b32_e32 v32, 5, v87
	s_mov_b32 s5, 0xbfebb67a
	v_lshlrev_b32_e32 v56, 5, v91
	v_add3_u32 v215, 0, v104, v100
	s_mov_b32 s11, 0x3febb67a
	s_clause 0x6
	global_load_b128 v[52:55], v32, s[8:9]
	global_load_b128 v[20:23], v20, s[8:9] offset:16
	global_load_b128 v[48:51], v32, s[8:9] offset:16
	global_load_b128 v[36:39], v34, s[8:9]
	global_load_b128 v[32:35], v34, s[8:9] offset:16
	global_load_b128 v[44:47], v56, s[8:9]
	global_load_b128 v[56:59], v56, s[8:9] offset:16
	ds_load_b128 v[106:109], v148 offset:12960
	ds_load_b128 v[110:113], v148 offset:25920
	;; [unrolled: 1-line block ×4, first 2 shown]
	ds_load_b128 v[140:143], v148
	ds_load_b128 v[144:147], v148 offset:15552
	ds_load_b128 v[151:154], v148 offset:28512
	;; [unrolled: 1-line block ×8, first 2 shown]
	s_mov_b32 s10, s4
	v_cmp_gt_u32_e64 s0, 9, v116
	s_add_u32 s1, s8, 0x9740
	s_waitcnt vmcnt(19) lgkmcnt(12)
	v_mul_f64 v[114:115], v[108:109], v[82:83]
	v_mul_f64 v[82:83], v[106:107], v[82:83]
	s_waitcnt vmcnt(18) lgkmcnt(10)
	v_mul_f64 v[187:188], v[134:135], v[6:7]
	s_waitcnt vmcnt(17)
	v_mul_f64 v[155:156], v[112:113], v[2:3]
	v_mul_f64 v[2:3], v[110:111], v[2:3]
	s_waitcnt vmcnt(16) lgkmcnt(9)
	v_mul_f64 v[189:190], v[138:139], v[18:19]
	v_mul_f64 v[18:19], v[136:137], v[18:19]
	;; [unrolled: 1-line block ×3, first 2 shown]
	s_waitcnt vmcnt(15) lgkmcnt(7)
	v_mul_f64 v[191:192], v[146:147], v[14:15]
	s_waitcnt vmcnt(14) lgkmcnt(6)
	v_mul_f64 v[193:194], v[153:154], v[10:11]
	v_mul_f64 v[195:196], v[144:145], v[14:15]
	;; [unrolled: 1-line block ×3, first 2 shown]
	s_waitcnt vmcnt(13) lgkmcnt(4)
	v_mul_f64 v[197:198], v[169:170], v[26:27]
	v_mul_f64 v[26:27], v[167:168], v[26:27]
	v_fma_f64 v[106:107], v[106:107], v[80:81], v[114:115]
	s_waitcnt vmcnt(12) lgkmcnt(3)
	v_mul_f64 v[114:115], v[173:174], v[62:63]
	v_mul_f64 v[62:63], v[171:172], v[62:63]
	v_fma_f64 v[108:109], v[108:109], v[80:81], -v[82:83]
	s_waitcnt vmcnt(11) lgkmcnt(2)
	v_mul_f64 v[199:200], v[177:178], v[66:67]
	v_mul_f64 v[66:67], v[175:176], v[66:67]
	v_fma_f64 v[132:133], v[132:133], v[4:5], v[187:188]
	v_fma_f64 v[110:111], v[110:111], v[0:1], v[155:156]
	v_fma_f64 v[112:113], v[112:113], v[0:1], -v[2:3]
	ds_load_b128 v[0:3], v148 offset:32400
	s_waitcnt vmcnt(10) lgkmcnt(2)
	v_mul_f64 v[187:188], v[181:182], v[74:75]
	v_mul_f64 v[74:75], v[179:180], v[74:75]
	v_fma_f64 v[136:137], v[136:137], v[16:17], v[189:190]
	v_fma_f64 v[18:19], v[138:139], v[16:17], -v[18:19]
	ds_load_b128 v[14:17], v148 offset:33696
	s_waitcnt vmcnt(9) lgkmcnt(2)
	v_mul_f64 v[138:139], v[185:186], v[70:71]
	v_fma_f64 v[134:135], v[134:135], v[4:5], -v[6:7]
	ds_load_b128 v[4:7], v148 offset:20736
	v_mul_f64 v[70:71], v[183:184], v[70:71]
	v_fma_f64 v[144:145], v[144:145], v[12:13], v[191:192]
	v_fma_f64 v[189:190], v[151:152], v[8:9], v[193:194]
	v_fma_f64 v[12:13], v[146:147], v[12:13], -v[195:196]
	v_fma_f64 v[146:147], v[153:154], v[8:9], -v[10:11]
	ds_load_b128 v[8:11], v148 offset:22032
	ds_load_b128 v[80:83], v157
	v_lshl_add_u32 v156, v129, 4, 0
	v_fma_f64 v[167:168], v[167:168], v[24:25], v[197:198]
	v_fma_f64 v[169:170], v[169:170], v[24:25], -v[26:27]
	ds_load_b128 v[24:27], v148 offset:34992
	v_lshl_add_u32 v155, v128, 4, 0
	s_waitcnt vmcnt(8) lgkmcnt(5)
	v_mul_f64 v[151:152], v[2:3], v[42:43]
	v_mul_f64 v[42:43], v[0:1], v[42:43]
	v_lshl_add_u32 v154, v127, 4, 0
	v_lshl_add_u32 v153, v126, 4, 0
	s_waitcnt vmcnt(5) lgkmcnt(4)
	v_mul_f64 v[193:194], v[16:17], v[22:23]
	s_waitcnt lgkmcnt(3)
	v_mul_f64 v[191:192], v[6:7], v[30:31]
	v_mul_f64 v[30:31], v[4:5], v[30:31]
	;; [unrolled: 1-line block ×3, first 2 shown]
	v_fma_f64 v[114:115], v[171:172], v[60:61], v[114:115]
	v_fma_f64 v[171:172], v[173:174], v[60:61], -v[62:63]
	s_waitcnt lgkmcnt(2)
	v_mul_f64 v[173:174], v[10:11], v[54:55]
	v_mul_f64 v[54:55], v[8:9], v[54:55]
	ds_load_b128 v[60:63], v148 offset:23328
	v_fma_f64 v[175:176], v[175:176], v[64:65], v[199:200]
	v_add_f64 v[195:196], v[108:109], v[112:113]
	v_fma_f64 v[177:178], v[177:178], v[64:65], -v[66:67]
	v_fma_f64 v[179:180], v[179:180], v[72:73], v[187:188]
	v_fma_f64 v[72:73], v[181:182], v[72:73], -v[74:75]
	v_add_f64 v[187:188], v[106:107], v[110:111]
	ds_load_b128 v[64:67], v148 offset:36288
	v_fma_f64 v[74:75], v[183:184], v[68:69], v[138:139]
	v_add_f64 v[138:139], v[132:133], v[136:137]
	v_add_f64 v[181:182], v[134:135], v[18:19]
	v_fma_f64 v[183:184], v[185:186], v[68:69], -v[70:71]
	ds_load_b128 v[68:71], v148 offset:37584
	v_add_f64 v[185:186], v[144:145], v[189:190]
	v_add_f64 v[197:198], v[12:13], v[146:147]
	v_fma_f64 v[199:200], v[0:1], v[40:41], v[151:152]
	v_fma_f64 v[201:202], v[2:3], v[40:41], -v[42:43]
	ds_load_b128 v[0:3], v158
	ds_load_b128 v[40:43], v121
	v_lshl_add_u32 v152, v125, 4, 0
	v_lshl_add_u32 v151, v124, 4, 0
	v_fma_f64 v[193:194], v[14:15], v[20:21], v[193:194]
	v_fma_f64 v[191:192], v[4:5], v[28:29], v[191:192]
	v_fma_f64 v[203:204], v[6:7], v[28:29], -v[30:31]
	s_waitcnt vmcnt(4) lgkmcnt(5)
	v_mul_f64 v[4:5], v[26:27], v[50:51]
	v_mul_f64 v[6:7], v[24:25], v[50:51]
	s_waitcnt vmcnt(3) lgkmcnt(4)
	v_mul_f64 v[28:29], v[62:63], v[38:39]
	v_mul_f64 v[30:31], v[60:61], v[38:39]
	v_fma_f64 v[205:206], v[16:17], v[20:21], -v[22:23]
	s_waitcnt vmcnt(2) lgkmcnt(3)
	v_mul_f64 v[14:15], v[66:67], v[34:35]
	v_mul_f64 v[16:17], v[64:65], v[34:35]
	s_waitcnt vmcnt(1)
	v_mul_f64 v[20:21], v[78:79], v[46:47]
	v_fma_f64 v[173:174], v[8:9], v[52:53], v[173:174]
	v_fma_f64 v[207:208], v[10:11], v[52:53], -v[54:55]
	s_waitcnt vmcnt(0) lgkmcnt(2)
	v_mul_f64 v[8:9], v[70:71], v[58:59]
	v_add_f64 v[52:53], v[167:168], v[114:115]
	v_add_f64 v[54:55], v[169:170], v[171:172]
	v_mul_f64 v[22:23], v[76:77], v[46:47]
	v_add_f64 v[10:11], v[142:143], v[108:109]
	v_fma_f64 v[50:51], v[195:196], -0.5, v[142:143]
	s_waitcnt lgkmcnt(1)
	v_fma_f64 v[138:139], v[138:139], -0.5, v[0:1]
	v_add_f64 v[142:143], v[0:1], v[132:133]
	v_mul_f64 v[0:1], v[68:69], v[58:59]
	v_add_f64 v[34:35], v[140:141], v[106:107]
	v_add_f64 v[38:39], v[2:3], v[134:135]
	v_fma_f64 v[46:47], v[187:188], -0.5, v[140:141]
	v_fma_f64 v[140:141], v[181:182], -0.5, v[2:3]
	v_and_b32_e32 v2, 0xffff, v98
	v_and_b32_e32 v3, 0xffff, v99
	v_add_f64 v[58:59], v[108:109], -v[112:113]
	v_add_f64 v[98:99], v[106:107], -v[110:111]
	v_lshlrev_b32_e32 v108, 4, v101
	v_add_f64 v[100:101], v[134:135], -v[18:19]
	v_mul_u32_u24_e32 v187, 0x1e0, v103
	v_lshlrev_b32_e32 v109, 4, v102
	v_add_f64 v[102:103], v[132:133], -v[136:137]
	s_waitcnt lgkmcnt(0)
	v_add_f64 v[181:182], v[42:43], v[12:13]
	v_fma_f64 v[185:186], v[185:186], -0.5, v[40:41]
	v_add_f64 v[40:41], v[40:41], v[144:145]
	v_fma_f64 v[42:43], v[197:198], -0.5, v[42:43]
	v_lshlrev_b32_e32 v132, 4, v105
	v_add_f64 v[104:105], v[12:13], -v[146:147]
	v_add_f64 v[106:107], v[144:145], -v[189:190]
	v_mul_u32_u24_e32 v2, 0x1e0, v2
	v_mul_u32_u24_e32 v3, 0x1e0, v3
	v_add3_u32 v218, 0, v187, v132
	v_fma_f64 v[132:133], v[26:27], v[48:49], -v[6:7]
	v_add_f64 v[144:145], v[80:81], v[167:168]
	v_add3_u32 v216, 0, v2, v108
	v_add3_u32 v217, 0, v3, v109
	v_fma_f64 v[108:109], v[24:25], v[48:49], v[4:5]
	v_add_f64 v[134:135], v[82:83], v[169:170]
	v_fma_f64 v[187:188], v[60:61], v[36:37], v[28:29]
	v_fma_f64 v[195:196], v[62:63], v[36:37], -v[30:31]
	v_fma_f64 v[197:198], v[64:65], v[32:33], v[14:15]
	v_fma_f64 v[209:210], v[66:67], v[32:33], -v[16:17]
	v_add_f64 v[169:170], v[169:170], -v[171:172]
	v_add_f64 v[167:168], v[167:168], -v[114:115]
	v_fma_f64 v[80:81], v[52:53], -0.5, v[80:81]
	v_fma_f64 v[82:83], v[54:55], -0.5, v[82:83]
	v_fma_f64 v[76:77], v[76:77], v[44:45], v[20:21]
	v_fma_f64 v[211:212], v[68:69], v[56:57], v[8:9]
	v_fma_f64 v[78:79], v[78:79], v[44:45], -v[22:23]
	v_fma_f64 v[213:214], v[70:71], v[56:57], -v[0:1]
	v_add_f64 v[2:3], v[10:11], v[112:113]
	v_add_f64 v[0:1], v[34:35], v[110:111]
	v_add_f64 v[6:7], v[38:39], v[18:19]
	v_fma_f64 v[12:13], v[58:59], s[4:5], v[46:47]
	v_fma_f64 v[14:15], v[98:99], s[10:11], v[50:51]
	v_fma_f64 v[18:19], v[98:99], s[4:5], v[50:51]
	v_fma_f64 v[20:21], v[100:101], s[4:5], v[138:139]
	v_fma_f64 v[24:25], v[100:101], s[10:11], v[138:139]
	v_add_f64 v[98:99], v[175:176], v[179:180]
	v_add_f64 v[100:101], v[177:178], v[72:73]
	v_fma_f64 v[16:17], v[58:59], s[10:11], v[46:47]
	v_add_f64 v[4:5], v[142:143], v[136:137]
	v_fma_f64 v[22:23], v[102:103], s[10:11], v[140:141]
	v_fma_f64 v[26:27], v[102:103], s[4:5], v[140:141]
	v_add_f64 v[10:11], v[181:182], v[146:147]
	v_add_f64 v[8:9], v[40:41], v[189:190]
	v_fma_f64 v[28:29], v[104:105], s[4:5], v[185:186]
	v_fma_f64 v[30:31], v[106:107], s[10:11], v[42:43]
	ds_load_b128 v[32:35], v156
	ds_load_b128 v[36:39], v155
	v_fma_f64 v[40:41], v[104:105], s[10:11], v[185:186]
	v_add_f64 v[102:103], v[74:75], v[199:200]
	v_add_f64 v[104:105], v[183:184], v[201:202]
	v_fma_f64 v[42:43], v[106:107], s[4:5], v[42:43]
	v_add_f64 v[106:107], v[191:192], v[193:194]
	v_add_f64 v[110:111], v[203:204], v[205:206]
	;; [unrolled: 1-line block ×8, first 2 shown]
	ds_load_b128 v[44:47], v154
	ds_load_b128 v[48:51], v153
	v_fma_f64 v[56:57], v[169:170], s[4:5], v[80:81]
	v_fma_f64 v[58:59], v[167:168], s[10:11], v[82:83]
	ds_load_b128 v[60:63], v152
	ds_load_b128 v[64:67], v151
	v_add_f64 v[140:141], v[76:77], v[211:212]
	s_waitcnt lgkmcnt(0)
	v_add_f64 v[138:139], v[34:35], v[177:178]
	v_add_f64 v[142:143], v[78:79], v[213:214]
	s_barrier
	buffer_gl0_inv
	ds_store_b128 v215, v[0:3]
	ds_store_b128 v215, v[12:15] offset:160
	ds_store_b128 v215, v[16:19] offset:320
	ds_store_b128 v216, v[4:7]
	ds_store_b128 v216, v[20:23] offset:160
	ds_store_b128 v216, v[24:27] offset:320
	ds_store_b128 v217, v[8:11]
	ds_store_b128 v217, v[28:31] offset:160
	v_add_f64 v[0:1], v[32:33], v[175:176]
	v_fma_f64 v[6:7], v[98:99], -0.5, v[32:33]
	v_add_f64 v[8:9], v[177:178], -v[72:73]
	v_fma_f64 v[10:11], v[100:101], -0.5, v[34:35]
	v_add_f64 v[12:13], v[175:176], -v[179:180]
	v_add_f64 v[14:15], v[38:39], v[183:184]
	v_add_f64 v[16:17], v[36:37], v[74:75]
	v_add_f64 v[20:21], v[183:184], -v[201:202]
	v_add_f64 v[24:25], v[74:75], -v[199:200]
	v_fma_f64 v[18:19], v[102:103], -0.5, v[36:37]
	v_fma_f64 v[22:23], v[104:105], -0.5, v[38:39]
	v_add_f64 v[26:27], v[46:47], v[203:204]
	v_add_f64 v[28:29], v[44:45], v[191:192]
	v_fma_f64 v[30:31], v[106:107], -0.5, v[44:45]
	v_fma_f64 v[34:35], v[110:111], -0.5, v[46:47]
	v_add_f64 v[32:33], v[203:204], -v[205:206]
	v_add_f64 v[36:37], v[191:192], -v[193:194]
	ds_store_b128 v217, v[40:43] offset:320
	v_add_f64 v[38:39], v[50:51], v[207:208]
	v_add_f64 v[40:41], v[48:49], v[173:174]
	v_fma_f64 v[42:43], v[112:113], -0.5, v[48:49]
	v_fma_f64 v[46:47], v[114:115], -0.5, v[50:51]
	v_add_f64 v[44:45], v[207:208], -v[132:133]
	v_add_f64 v[48:49], v[173:174], -v[108:109]
	ds_store_b128 v218, v[52:55]
	ds_store_b128 v218, v[56:59] offset:160
	v_fma_f64 v[54:55], v[134:135], -0.5, v[60:61]
	v_fma_f64 v[58:59], v[136:137], -0.5, v[62:63]
	v_add_f64 v[50:51], v[62:63], v[195:196]
	v_add_f64 v[52:53], v[60:61], v[187:188]
	v_add_f64 v[56:57], v[195:196], -v[209:210]
	v_add_f64 v[60:61], v[187:188], -v[197:198]
	v_fma_f64 v[74:75], v[140:141], -0.5, v[64:65]
	v_add_f64 v[62:63], v[66:67], v[78:79]
	v_add_f64 v[64:65], v[64:65], v[76:77]
	v_fma_f64 v[68:69], v[169:170], s[10:11], v[80:81]
	v_fma_f64 v[80:81], v[142:143], -0.5, v[66:67]
	v_add_f64 v[2:3], v[138:139], v[72:73]
	v_add_f64 v[72:73], v[78:79], -v[213:214]
	v_add_f64 v[76:77], v[76:77], -v[211:212]
	v_fma_f64 v[70:71], v[167:168], s[4:5], v[82:83]
	v_add_f64 v[0:1], v[0:1], v[179:180]
	v_fma_f64 v[4:5], v[8:9], s[4:5], v[6:7]
	v_fma_f64 v[8:9], v[8:9], s[10:11], v[6:7]
	v_fma_f64 v[6:7], v[12:13], s[10:11], v[10:11]
	v_fma_f64 v[10:11], v[12:13], s[4:5], v[10:11]
	v_add_f64 v[14:15], v[14:15], v[201:202]
	v_add_f64 v[12:13], v[16:17], v[199:200]
	v_fma_f64 v[16:17], v[20:21], s[4:5], v[18:19]
	v_fma_f64 v[20:21], v[20:21], s[10:11], v[18:19]
	v_fma_f64 v[18:19], v[24:25], s[10:11], v[22:23]
	v_fma_f64 v[22:23], v[24:25], s[4:5], v[22:23]
	v_add_f64 v[26:27], v[26:27], v[205:206]
	;; [unrolled: 6-line block ×3, first 2 shown]
	v_add_f64 v[36:37], v[40:41], v[108:109]
	v_mul_u32_u24_e32 v66, 0x1e0, v93
	v_fma_f64 v[40:41], v[44:45], s[4:5], v[42:43]
	v_fma_f64 v[44:45], v[44:45], s[10:11], v[42:43]
	;; [unrolled: 1-line block ×4, first 2 shown]
	v_lshlrev_b32_e32 v67, 4, v94
	v_add_f64 v[50:51], v[50:51], v[209:210]
	v_add_f64 v[48:49], v[52:53], v[197:198]
	v_fma_f64 v[52:53], v[56:57], s[4:5], v[54:55]
	v_fma_f64 v[56:57], v[56:57], s[10:11], v[54:55]
	;; [unrolled: 1-line block ×4, first 2 shown]
	v_add_f64 v[62:63], v[62:63], v[213:214]
	v_add_f64 v[60:61], v[64:65], v[211:212]
	v_add3_u32 v78, 0, v66, v67
	v_mul_u32_u24_e32 v79, 0x1e0, v92
	v_fma_f64 v[64:65], v[72:73], s[4:5], v[74:75]
	v_fma_f64 v[66:67], v[76:77], s[10:11], v[80:81]
	;; [unrolled: 1-line block ×4, first 2 shown]
	v_lshlrev_b32_e32 v82, 4, v96
	ds_store_b128 v218, v[68:71] offset:320
	v_mul_u32_u24_e32 v68, 0x1e0, v95
	v_lshlrev_b32_e32 v69, 4, v97
	ds_store_b128 v78, v[0:3]
	ds_store_b128 v78, v[4:7] offset:160
	ds_store_b128 v78, v[8:11] offset:320
	v_mul_lo_u16 v1, 0x89, v84
	v_add3_u32 v70, 0, v79, v82
	v_mul_u32_u24_e32 v2, 0x1e0, v86
	v_add3_u32 v0, 0, v68, v69
	v_lshlrev_b32_e32 v3, 4, v87
	v_lshrrev_b16 v132, 12, v1
	ds_store_b128 v70, v[12:15]
	ds_store_b128 v70, v[16:19] offset:160
	ds_store_b128 v70, v[20:23] offset:320
	ds_store_b128 v0, v[24:27]
	ds_store_b128 v0, v[28:31] offset:160
	ds_store_b128 v0, v[32:35] offset:320
	v_add3_u32 v2, 0, v2, v3
	v_mul_lo_u16 v0, v132, 30
	v_mul_u32_u24_e32 v1, 0x1e0, v89
	v_lshlrev_b32_e32 v4, 4, v90
	ds_store_b128 v2, v[36:39]
	ds_store_b128 v2, v[40:43] offset:160
	ds_store_b128 v2, v[44:47] offset:320
	v_sub_nc_u16 v0, v116, v0
	v_mul_lo_u16 v2, 0x89, v85
	v_add3_u32 v1, 0, v1, v4
	v_mul_u32_u24_e32 v3, 0x1e0, v88
	v_lshlrev_b32_e32 v4, 4, v91
	v_and_b32_e32 v167, 0xff, v0
	v_lshrrev_b16 v182, 12, v2
	ds_store_b128 v1, v[48:51]
	ds_store_b128 v1, v[52:55] offset:160
	v_mul_lo_u16 v2, 0x89, v164
	v_add3_u32 v3, 0, v3, v4
	ds_store_b128 v1, v[56:59] offset:320
	ds_store_b128 v3, v[60:63]
	ds_store_b128 v3, v[64:67] offset:160
	v_lshlrev_b32_e32 v0, 5, v167
	v_mul_lo_u16 v1, v182, 30
	ds_store_b128 v3, v[72:75] offset:320
	s_waitcnt lgkmcnt(0)
	s_barrier
	buffer_gl0_inv
	v_sub_nc_u16 v1, v120, v1
	s_clause 0x1
	global_load_b128 v[60:63], v0, s[8:9] offset:320
	global_load_b128 v[64:67], v0, s[8:9] offset:336
	v_lshrrev_b16 v183, 12, v2
	v_mul_u32_u24_e32 v0, 0x8889, v163
	v_and_b32_e32 v168, 0xff, v1
	v_mul_u32_u24_e32 v12, 0x8889, v162
	v_mul_u32_u24_e32 v17, 0x8889, v161
	v_mul_lo_u16 v1, v183, 30
	v_lshrrev_b32_e32 v184, 20, v0
	v_lshlrev_b32_e32 v2, 5, v168
	v_lshrrev_b32_e32 v180, 20, v12
	v_lshrrev_b32_e32 v170, 20, v17
	v_sub_nc_u16 v0, v131, v1
	v_mul_lo_u16 v1, v184, 30
	global_load_b128 v[133:136], v2, s[8:9] offset:320
	v_mul_lo_u16 v20, v180, 30
	v_mul_lo_u16 v21, v170, 30
	v_and_b32_e32 v169, 0xff, v0
	v_sub_nc_u16 v0, v130, v1
	v_mul_u32_u24_e32 v1, 0x8889, v165
	v_sub_nc_u16 v20, v127, v20
	global_load_b128 v[92:95], v2, s[8:9] offset:336
	v_mul_u32_u24_e32 v22, 0x8889, v160
	v_and_b32_e32 v171, 0xffff, v0
	v_lshrrev_b32_e32 v185, 20, v1
	v_and_b32_e32 v181, 0xffff, v20
	v_sub_nc_u16 v20, v126, v21
	v_lshrrev_b32_e32 v172, 20, v22
	v_lshlrev_b32_e32 v0, 5, v171
	v_mul_lo_u16 v1, v185, 30
	v_lshlrev_b32_e32 v21, 5, v181
	v_mul_u32_u24_e32 v22, 0x8889, v159
	v_and_b32_e32 v176, 0xffff, v20
	s_clause 0x1
	global_load_b128 v[88:91], v0, s[8:9] offset:320
	global_load_b128 v[8:11], v0, s[8:9] offset:336
	v_sub_nc_u16 v1, v129, v1
	global_load_b128 v[44:47], v21, s[8:9] offset:320
	v_lshrrev_b32_e32 v177, 20, v22
	v_lshlrev_b32_e32 v22, 5, v176
	global_load_b128 v[40:43], v21, s[8:9] offset:336
	v_and_b32_e32 v173, 0xffff, v1
	v_mul_lo_u16 v20, v172, 30
	v_mul_u32_u24_e32 v203, 0x5a0, v180
	global_load_b128 v[36:39], v22, s[8:9] offset:320
	v_mul_lo_u16 v21, v177, 30
	v_lshlrev_b32_e32 v0, 5, v173
	v_sub_nc_u16 v20, v125, v20
	global_load_b128 v[32:35], v22, s[8:9] offset:336
	v_mul_u32_u24_e32 v202, 0x5a0, v185
	v_mul_u32_u24_e32 v227, 0x5a0, v177
	global_load_b128 v[4:7], v0, s[8:9] offset:320
	v_lshlrev_b32_e32 v2, 5, v169
	v_and_b32_e32 v178, 0xffff, v20
	v_sub_nc_u16 v20, v124, v21
	v_lshlrev_b32_e32 v228, 4, v176
	v_mul_u32_u24_e32 v226, 0x5a0, v172
	s_clause 0x1
	global_load_b128 v[84:87], v2, s[8:9] offset:320
	global_load_b128 v[80:83], v2, s[8:9] offset:336
	v_mul_u32_u24_e32 v2, 0x8889, v166
	v_lshlrev_b32_e32 v21, 5, v178
	v_and_b32_e32 v179, 0xffff, v20
	v_lshlrev_b32_e32 v229, 4, v178
	s_delay_alu instid0(VALU_DEP_4)
	v_lshrrev_b32_e32 v175, 20, v2
	global_load_b128 v[24:27], v21, s[8:9] offset:320
	v_lshlrev_b32_e32 v48, 5, v179
	v_lshlrev_b32_e32 v179, 4, v179
	v_mul_lo_u16 v1, v175, 30
	v_mul_u32_u24_e32 v175, 0x5a0, v175
	s_delay_alu instid0(VALU_DEP_2) | instskip(NEXT) | instid1(VALU_DEP_1)
	v_sub_nc_u16 v1, v128, v1
	v_and_b32_e32 v174, 0xffff, v1
	global_load_b128 v[0:3], v0, s[8:9] offset:336
	v_lshlrev_b32_e32 v16, 5, v174
	s_clause 0x4
	global_load_b128 v[12:15], v16, s[8:9] offset:320
	global_load_b128 v[16:19], v16, s[8:9] offset:336
	;; [unrolled: 1-line block ×5, first 2 shown]
	ds_load_b128 v[68:71], v148 offset:12960
	ds_load_b128 v[110:113], v148 offset:25920
	;; [unrolled: 1-line block ×3, first 2 shown]
	ds_load_b128 v[52:55], v148
	ds_load_b128 v[190:193], v148 offset:27216
	ds_load_b128 v[56:59], v148 offset:24624
	;; [unrolled: 1-line block ×7, first 2 shown]
	s_waitcnt vmcnt(19) lgkmcnt(10)
	v_mul_f64 v[108:109], v[70:71], v[62:63]
	v_mul_f64 v[62:63], v[68:69], v[62:63]
	s_waitcnt vmcnt(18) lgkmcnt(9)
	v_mul_f64 v[114:115], v[112:113], v[66:67]
	v_mul_f64 v[66:67], v[110:111], v[66:67]
	;; [unrolled: 3-line block ×5, first 2 shown]
	v_fma_f64 v[94:95], v[68:69], v[60:61], v[108:109]
	v_fma_f64 v[108:109], v[70:71], v[60:61], -v[62:63]
	ds_load_b128 v[68:71], v148 offset:31104
	ds_load_b128 v[60:63], v148 offset:32400
	v_fma_f64 v[90:91], v[188:189], v[133:134], -v[196:197]
	s_waitcnt vmcnt(8)
	v_mul_f64 v[144:145], v[106:107], v[86:87]
	v_mul_f64 v[146:147], v[104:105], v[86:87]
	s_waitcnt vmcnt(7)
	v_mul_f64 v[138:139], v[102:103], v[82:83]
	v_mul_f64 v[140:141], v[100:101], v[82:83]
	v_fma_f64 v[82:83], v[110:111], v[64:65], v[114:115]
	v_fma_f64 v[86:87], v[112:113], v[64:65], -v[66:67]
	s_waitcnt lgkmcnt(2)
	v_mul_f64 v[110:111], v[78:79], v[10:11]
	v_mul_f64 v[112:113], v[76:77], v[10:11]
	v_fma_f64 v[10:11], v[186:187], v[133:134], v[194:195]
	ds_load_b128 v[64:67], v148 offset:19440
	v_mul_f64 v[114:115], v[74:75], v[6:7]
	v_mul_f64 v[6:7], v[72:73], v[6:7]
	v_and_b32_e32 v186, 0xffff, v132
	v_fma_f64 v[132:133], v[190:191], v[92:93], v[198:199]
	ds_load_b128 v[187:190], v148 offset:20736
	v_fma_f64 v[92:93], v[192:193], v[92:93], -v[200:201]
	v_and_b32_e32 v193, 0xffff, v182
	v_and_b32_e32 v194, 0xffff, v183
	v_fma_f64 v[182:183], v[96:97], v[88:89], v[136:137]
	v_fma_f64 v[88:89], v[98:99], v[88:89], -v[142:143]
	ds_load_b128 v[96:99], v148 offset:34992
	v_mul_u32_u24_e32 v180, 0x5a0, v186
	v_lshlrev_b32_e32 v199, 4, v167
	s_waitcnt vmcnt(5) lgkmcnt(4)
	v_mul_f64 v[134:135], v[70:71], v[2:3]
	v_mul_f64 v[2:3], v[68:69], v[2:3]
	v_mul_u32_u24_e32 v201, 0x5a0, v184
	v_mul_u32_u24_e32 v186, 0x5a0, v193
	;; [unrolled: 1-line block ×3, first 2 shown]
	v_add3_u32 v219, 0, v180, v199
	s_waitcnt vmcnt(4) lgkmcnt(2)
	v_mul_f64 v[191:192], v[66:67], v[14:15]
	v_mul_f64 v[14:15], v[64:65], v[14:15]
	s_waitcnt vmcnt(1)
	v_mul_f64 v[197:198], v[58:59], v[30:31]
	v_fma_f64 v[144:145], v[104:105], v[84:85], v[144:145]
	v_fma_f64 v[84:85], v[106:107], v[84:85], -v[146:147]
	ds_load_b128 v[104:107], v148 offset:22032
	v_fma_f64 v[146:147], v[100:101], v[80:81], v[138:139]
	ds_load_b128 v[136:139], v148 offset:33696
	v_fma_f64 v[80:81], v[102:103], v[80:81], -v[140:141]
	ds_load_b128 v[100:103], v157
	v_mul_f64 v[140:141], v[62:63], v[18:19]
	v_mul_f64 v[18:19], v[60:61], v[18:19]
	v_fma_f64 v[110:111], v[76:77], v[8:9], v[110:111]
	v_fma_f64 v[112:113], v[78:79], v[8:9], -v[112:113]
	ds_load_b128 v[76:79], v148 offset:23328
	v_fma_f64 v[72:73], v[72:73], v[4:5], v[114:115]
	v_fma_f64 v[74:75], v[74:75], v[4:5], -v[6:7]
	ds_load_b128 v[4:7], v148 offset:36288
	s_waitcnt lgkmcnt(6)
	v_mul_f64 v[8:9], v[189:190], v[46:47]
	v_mul_f64 v[46:47], v[187:188], v[46:47]
	s_waitcnt lgkmcnt(5)
	v_mul_f64 v[184:185], v[96:97], v[34:35]
	s_waitcnt lgkmcnt(4)
	v_mul_f64 v[142:143], v[106:107], v[38:39]
	v_fma_f64 v[68:69], v[68:69], v[0:1], v[134:135]
	v_mul_f64 v[134:135], v[104:105], v[38:39]
	v_fma_f64 v[70:71], v[70:71], v[0:1], -v[2:3]
	ds_load_b128 v[0:3], v148 offset:37584
	s_waitcnt lgkmcnt(4)
	v_mul_f64 v[114:115], v[138:139], v[42:43]
	v_mul_f64 v[42:43], v[136:137], v[42:43]
	v_lshlrev_b32_e32 v38, 4, v168
	v_mul_f64 v[167:168], v[98:99], v[34:35]
	v_fma_f64 v[64:65], v[64:65], v[12:13], v[191:192]
	s_waitcnt lgkmcnt(2)
	v_mul_f64 v[191:192], v[78:79], v[26:27]
	v_mul_f64 v[26:27], v[76:77], v[26:27]
	v_fma_f64 v[66:67], v[66:67], v[12:13], -v[14:15]
	v_lshlrev_b32_e32 v14, 4, v173
	v_lshlrev_b32_e32 v15, 4, v174
	s_waitcnt lgkmcnt(1)
	v_mul_f64 v[173:174], v[6:7], v[22:23]
	v_mul_f64 v[195:196], v[4:5], v[22:23]
	v_lshlrev_b32_e32 v12, 4, v169
	v_lshlrev_b32_e32 v13, 4, v171
	v_add3_u32 v223, 0, v202, v14
	v_add3_u32 v224, 0, v175, v15
	;; [unrolled: 1-line block ×3, first 2 shown]
	v_fma_f64 v[140:141], v[60:61], v[16:17], v[140:141]
	v_fma_f64 v[193:194], v[62:63], v[16:17], -v[18:19]
	v_lshlrev_b32_e32 v16, 4, v181
	v_mul_f64 v[180:181], v[56:57], v[30:31]
	s_waitcnt vmcnt(0) lgkmcnt(0)
	v_mul_f64 v[199:200], v[2:3], v[50:51]
	v_mul_f64 v[50:51], v[0:1], v[50:51]
	v_add3_u32 v221, 0, v204, v12
	v_add3_u32 v222, 0, v201, v13
	;; [unrolled: 1-line block ×3, first 2 shown]
	ds_load_b128 v[12:15], v158
	ds_load_b128 v[16:19], v121
	v_fma_f64 v[186:187], v[187:188], v[44:45], v[8:9]
	v_fma_f64 v[46:47], v[189:190], v[44:45], -v[46:47]
	v_add_f64 v[8:9], v[94:95], v[82:83]
	v_add_f64 v[201:202], v[100:101], v[182:183]
	v_fma_f64 v[98:99], v[98:99], v[32:33], -v[184:185]
	v_fma_f64 v[104:105], v[104:105], v[36:37], v[142:143]
	v_add_f64 v[142:143], v[52:53], v[94:95]
	v_fma_f64 v[106:107], v[106:107], v[36:37], -v[134:135]
	v_add_f64 v[134:135], v[108:109], v[86:87]
	v_fma_f64 v[56:57], v[56:57], v[28:29], v[197:198]
	v_fma_f64 v[114:115], v[136:137], v[40:41], v[114:115]
	v_fma_f64 v[136:137], v[138:139], v[40:41], -v[42:43]
	ds_load_b128 v[38:41], v156
	ds_load_b128 v[42:45], v155
	v_add_f64 v[138:139], v[54:55], v[108:109]
	v_fma_f64 v[96:97], v[96:97], v[32:33], v[167:168]
	ds_load_b128 v[34:37], v154
	ds_load_b128 v[60:63], v153
	v_fma_f64 v[76:77], v[76:77], v[24:25], v[191:192]
	v_fma_f64 v[78:79], v[78:79], v[24:25], -v[26:27]
	v_add_f64 v[26:27], v[90:91], v[92:93]
	s_waitcnt lgkmcnt(4)
	v_add_f64 v[188:189], v[16:17], v[144:145]
	ds_load_b128 v[22:25], v152
	ds_load_b128 v[30:33], v151
	v_fma_f64 v[167:168], v[4:5], v[20:21], v[173:174]
	v_add_f64 v[4:5], v[10:11], v[132:133]
	v_fma_f64 v[20:21], v[6:7], v[20:21], -v[195:196]
	v_add_f64 v[6:7], v[14:15], v[90:91]
	v_add_f64 v[173:174], v[12:13], v[10:11]
	;; [unrolled: 1-line block ×7, first 2 shown]
	v_fma_f64 v[58:59], v[58:59], v[28:29], -v[180:181]
	v_fma_f64 v[180:181], v[0:1], v[48:49], v[199:200]
	v_add_f64 v[28:29], v[144:145], v[146:147]
	v_fma_f64 v[48:49], v[2:3], v[48:49], -v[50:51]
	v_add_f64 v[50:51], v[108:109], -v[86:87]
	v_add_f64 v[108:109], v[18:19], v[84:85]
	v_add_f64 v[199:200], v[102:103], v[88:89]
	s_waitcnt lgkmcnt(5)
	v_add_f64 v[207:208], v[40:41], v[74:75]
	v_add_f64 v[205:206], v[74:75], v[70:71]
	v_add_f64 v[94:95], v[94:95], -v[82:83]
	v_add_f64 v[144:145], v[144:145], -v[146:147]
	v_fma_f64 v[52:53], v[8:9], -0.5, v[52:53]
	v_add_f64 v[90:91], v[90:91], -v[92:93]
	v_add_f64 v[0:1], v[142:143], v[82:83]
	v_add_f64 v[82:83], v[66:67], v[193:194]
	v_fma_f64 v[54:55], v[134:135], -0.5, v[54:55]
	v_add_f64 v[134:135], v[38:39], v[72:73]
	v_add_f64 v[142:143], v[72:73], -v[68:69]
	s_waitcnt lgkmcnt(4)
	v_add_f64 v[72:73], v[44:45], v[66:67]
	v_add_f64 v[211:212], v[186:187], v[114:115]
	;; [unrolled: 1-line block ×3, first 2 shown]
	v_add_f64 v[86:87], v[182:183], -v[110:111]
	v_add_f64 v[138:139], v[74:75], -v[70:71]
	v_add_f64 v[197:198], v[10:11], -v[132:133]
	v_add_f64 v[84:85], v[84:85], -v[80:81]
	v_fma_f64 v[182:183], v[26:27], -0.5, v[14:15]
	v_add_f64 v[26:27], v[42:43], v[64:65]
	v_add_f64 v[8:9], v[188:189], v[146:147]
	s_waitcnt lgkmcnt(2)
	v_add_f64 v[146:147], v[60:61], v[104:105]
	v_fma_f64 v[74:75], v[4:5], -0.5, v[12:13]
	v_add_f64 v[188:189], v[76:77], v[167:168]
	v_add_f64 v[12:13], v[201:202], v[110:111]
	;; [unrolled: 1-line block ×5, first 2 shown]
	v_add_f64 v[88:89], v[88:89], -v[112:113]
	v_add_f64 v[4:5], v[173:174], v[132:133]
	v_add_f64 v[173:174], v[36:37], v[46:47]
	;; [unrolled: 1-line block ×4, first 2 shown]
	v_fma_f64 v[213:214], v[28:29], -0.5, v[16:17]
	v_add_f64 v[217:218], v[104:105], v[96:97]
	v_fma_f64 v[184:185], v[184:185], -0.5, v[18:19]
	v_add_f64 v[10:11], v[108:109], v[80:81]
	v_add_f64 v[80:81], v[106:107], v[98:99]
	;; [unrolled: 1-line block ×3, first 2 shown]
	s_waitcnt lgkmcnt(1)
	v_add_f64 v[112:113], v[24:25], v[78:79]
	v_add_f64 v[199:200], v[22:23], v[76:77]
	;; [unrolled: 1-line block ×3, first 2 shown]
	s_waitcnt lgkmcnt(0)
	v_add_f64 v[70:71], v[32:33], v[58:59]
	v_fma_f64 v[100:101], v[190:191], -0.5, v[100:101]
	v_fma_f64 v[102:103], v[195:196], -0.5, v[102:103]
	;; [unrolled: 1-line block ×4, first 2 shown]
	v_add_f64 v[16:17], v[134:135], v[68:69]
	v_add_f64 v[68:69], v[58:59], v[48:49]
	v_fma_f64 v[134:135], v[209:210], -0.5, v[42:43]
	v_add_f64 v[42:43], v[30:31], v[56:57]
	v_fma_f64 v[203:204], v[82:83], -0.5, v[44:45]
	v_add_f64 v[205:206], v[66:67], -v[193:194]
	v_add_f64 v[175:176], v[78:79], -v[20:21]
	v_add_f64 v[177:178], v[76:77], -v[167:168]
	v_add_f64 v[28:29], v[72:73], v[193:194]
	v_mul_u32_u24_e32 v194, 0x5a0, v170
	v_add_f64 v[26:27], v[26:27], v[140:141]
	v_add_f64 v[140:141], v[64:65], -v[140:141]
	v_add_f64 v[38:39], v[146:147], v[96:97]
	v_add_f64 v[169:170], v[46:47], -v[136:137]
	v_fma_f64 v[146:147], v[188:189], -0.5, v[22:23]
	v_add_f64 v[171:172], v[186:187], -v[114:115]
	v_fma_f64 v[24:25], v[110:111], -0.5, v[24:25]
	v_fma_f64 v[209:210], v[211:212], -0.5, v[34:35]
	;; [unrolled: 1-line block ×3, first 2 shown]
	v_add_f64 v[104:105], v[104:105], -v[96:97]
	v_add_f64 v[186:187], v[58:59], -v[48:49]
	v_add_f64 v[207:208], v[56:57], -v[180:181]
	v_add_f64 v[36:37], v[173:174], v[136:137]
	v_add_f64 v[108:109], v[62:63], v[106:107]
	v_add_f64 v[106:107], v[106:107], -v[98:99]
	v_add_f64 v[34:35], v[215:216], v[114:115]
	v_fma_f64 v[114:115], v[217:218], -0.5, v[60:61]
	v_fma_f64 v[44:45], v[94:95], s[10:11], v[54:55]
	v_fma_f64 v[136:137], v[80:81], -0.5, v[62:63]
	v_fma_f64 v[46:47], v[50:51], s[10:11], v[52:53]
	v_add_f64 v[22:23], v[112:113], v[20:21]
	v_add_f64 v[20:21], v[199:200], v[167:168]
	v_fma_f64 v[167:168], v[201:202], -0.5, v[30:31]
	v_fma_f64 v[56:57], v[197:198], s[4:5], v[182:183]
	v_fma_f64 v[58:59], v[84:85], s[4:5], v[213:214]
	;; [unrolled: 1-line block ×6, first 2 shown]
	v_fma_f64 v[173:174], v[68:69], -0.5, v[32:33]
	v_add_f64 v[32:33], v[70:71], v[48:49]
	v_add_f64 v[30:31], v[42:43], v[180:181]
	v_fma_f64 v[42:43], v[50:51], s[4:5], v[52:53]
	v_fma_f64 v[48:49], v[94:95], s[4:5], v[54:55]
	;; [unrolled: 1-line block ×22, first 2 shown]
	v_add_f64 v[40:41], v[108:109], v[98:99]
	v_fma_f64 v[98:99], v[106:107], s[4:5], v[114:115]
	v_fma_f64 v[100:101], v[104:105], s[10:11], v[136:137]
	;; [unrolled: 1-line block ×8, first 2 shown]
	v_add3_u32 v24, 0, v194, v228
	v_add3_u32 v25, 0, v226, v229
	s_barrier
	v_fma_f64 v[136:137], v[207:208], s[10:11], v[173:174]
	v_fma_f64 v[140:141], v[207:208], s[4:5], v[173:174]
	buffer_gl0_inv
	ds_store_b128 v219, v[0:3]
	ds_store_b128 v219, v[42:45] offset:480
	ds_store_b128 v219, v[46:49] offset:960
	ds_store_b128 v220, v[4:7]
	ds_store_b128 v220, v[50:53] offset:480
	ds_store_b128 v220, v[54:57] offset:960
	;; [unrolled: 3-line block ×8, first 2 shown]
	ds_store_b128 v25, v[20:23]
	ds_store_b128 v25, v[106:109] offset:480
	v_dual_mov_b32 v133, 0 :: v_dual_add_nc_u32 v0, -9, v116
	v_lshlrev_b32_e32 v132, 1, v116
	v_add3_u32 v114, 0, v227, v179
	ds_store_b128 v25, v[110:113] offset:960
	ds_store_b128 v114, v[30:33]
	ds_store_b128 v114, v[134:137] offset:480
	v_cndmask_b32_e64 v146, v0, v120, s0
	v_mov_b32_e32 v1, v133
	v_lshlrev_b64 v[192:193], 4, v[132:133]
	ds_store_b128 v114, v[138:141] offset:960
	s_waitcnt lgkmcnt(0)
	v_lshlrev_b32_e32 v0, 1, v146
	s_barrier
	buffer_gl0_inv
	v_add_co_u32 v134, s0, s8, v192
	v_lshlrev_b64 v[0:1], 4, v[0:1]
	v_add_co_ci_u32_e64 v135, s0, s9, v193, s0
	s_clause 0x1
	global_load_b128 v[76:79], v[134:135], off offset:1280
	global_load_b128 v[48:51], v[134:135], off offset:1296
	v_add_co_u32 v0, s0, s8, v0
	s_delay_alu instid0(VALU_DEP_1)
	v_add_co_ci_u32_e64 v1, s0, s9, v1, s0
	v_mul_lo_u16 v2, 0xb7, v164
	v_mul_u32_u24_e32 v12, 0x2d83, v165
	v_mul_u32_u24_e32 v37, 0x2d83, v161
	s_clause 0x1
	global_load_b128 v[68:71], v[0:1], off offset:1280
	global_load_b128 v[4:7], v[0:1], off offset:1296
	v_lshrrev_b16 v147, 14, v2
	v_lshrrev_b32_e32 v168, 20, v12
	v_mul_u32_u24_e32 v12, 0x2d83, v166
	v_lshrrev_b32_e32 v173, 20, v37
	v_mov_b32_e32 v190, v133
	v_mul_lo_u16 v2, 0x5a, v147
	v_mul_u32_u24_e32 v3, 0x2d83, v163
	v_mul_lo_u16 v14, 0x5a, v168
	v_lshrrev_b32_e32 v170, 20, v12
	v_mul_lo_u16 v41, 0x5a, v173
	v_sub_nc_u16 v2, v131, v2
	v_lshrrev_b32_e32 v167, 20, v3
	v_sub_nc_u16 v20, v129, v14
	v_mul_lo_u16 v21, 0x5a, v170
	v_sub_nc_u16 v41, v126, v41
	v_and_b32_e32 v163, 0xff, v2
	v_mul_lo_u16 v2, 0x5a, v167
	v_and_b32_e32 v145, 0xffff, v20
	v_sub_nc_u16 v20, v128, v21
	v_mul_u32_u24_e32 v22, 0x2d83, v162
	v_and_b32_e32 v166, 0xffff, v41
	v_sub_nc_u16 v9, v130, v2
	v_lshlrev_b32_e32 v21, 5, v145
	v_and_b32_e32 v164, 0xffff, v20
	v_lshrrev_b32_e32 v172, 20, v22
	v_lshlrev_b32_e32 v44, 5, v166
	v_and_b32_e32 v144, 0xffff, v9
	v_lshlrev_b32_e32 v8, 5, v163
	v_lshlrev_b32_e32 v20, 5, v164
	s_clause 0x2
	global_load_b128 v[32:35], v21, s[8:9] offset:1280
	global_load_b128 v[28:31], v21, s[8:9] offset:1296
	;; [unrolled: 1-line block ×3, first 2 shown]
	v_lshlrev_b32_e32 v13, 5, v144
	global_load_b128 v[24:27], v20, s[8:9] offset:1280
	v_mul_lo_u16 v21, 0x5a, v172
	global_load_b128 v[0:3], v8, s[8:9] offset:1280
	v_mul_u32_u24_e32 v42, 0x2d83, v160
	s_clause 0x2
	global_load_b128 v[16:19], v13, s[8:9] offset:1280
	global_load_b128 v[8:11], v8, s[8:9] offset:1296
	;; [unrolled: 1-line block ×3, first 2 shown]
	v_sub_nc_u16 v36, v127, v21
	global_load_b128 v[20:23], v20, s[8:9] offset:1296
	v_lshrrev_b32_e32 v174, 20, v42
	v_mul_u32_u24_e32 v45, 0x2d83, v159
	global_load_b128 v[64:67], v44, s[8:9] offset:1296
	v_and_b32_e32 v165, 0xffff, v36
	v_lshlrev_b32_e32 v181, 1, v120
	v_mul_lo_u16 v46, 0x5a, v174
	v_lshrrev_b32_e32 v45, 20, v45
	v_lshlrev_b32_e32 v183, 1, v131
	v_lshlrev_b32_e32 v40, 5, v165
	v_mov_b32_e32 v182, v133
	v_sub_nc_u16 v46, v125, v46
	v_mul_lo_u16 v44, 0x5a, v45
	v_mov_b32_e32 v184, v133
	s_clause 0x1
	global_load_b128 v[36:39], v40, s[8:9] offset:1280
	global_load_b128 v[40:43], v40, s[8:9] offset:1296
	v_and_b32_e32 v169, 0xffff, v46
	v_sub_nc_u16 v44, v124, v44
	v_add_nc_u32_e32 v189, 0x6c, v132
	v_mul_u32_u24_e32 v205, 0x795d, v162
	v_mul_u32_u24_e32 v206, 0x795d, v159
	v_lshlrev_b32_e32 v45, 5, v169
	v_and_b32_e32 v171, 0xffff, v44
	s_clause 0x1
	global_load_b128 v[52:55], v45, s[8:9] offset:1280
	global_load_b128 v[44:47], v45, s[8:9] offset:1296
	v_lshlrev_b32_e32 v72, 5, v171
	s_clause 0x1
	global_load_b128 v[60:63], v72, s[8:9] offset:1280
	global_load_b128 v[72:75], v72, s[8:9] offset:1296
	ds_load_b128 v[108:111], v148 offset:12960
	ds_load_b128 v[104:107], v148 offset:25920
	;; [unrolled: 1-line block ×3, first 2 shown]
	ds_load_b128 v[80:83], v148
	ds_load_b128 v[96:99], v148 offset:27216
	ds_load_b128 v[84:87], v148 offset:24624
	;; [unrolled: 1-line block ×6, first 2 shown]
	v_cmp_lt_u32_e64 s0, 8, v116
	v_lshlrev_b32_e32 v207, 4, v146
	v_add_nc_u32_e32 v132, 0x10e, v132
	v_subrev_nc_u32_e32 v175, 27, v116
	v_mul_u32_u24_e32 v214, 0x10e0, v172
	v_cndmask_b32_e64 v176, 0, 0x10e0, s0
	v_cmp_gt_u32_e64 s0, 27, v116
	v_lshlrev_b64 v[203:204], 4, v[132:133]
	v_mul_u32_u24_e32 v215, 0x10e0, v173
	v_and_b32_e32 v147, 0xffff, v147
	v_add3_u32 v211, 0, v176, v207
	v_cndmask_b32_e64 v175, v175, v130, s0
	v_mov_b32_e32 v188, v133
	v_mul_u32_u24_e32 v209, 0x10e0, v167
	v_mul_u32_u24_e32 v212, 0x10e0, v168
	v_lshrrev_b32_e32 v146, 23, v205
	v_lshlrev_b32_e32 v187, 1, v175
	v_mul_u32_u24_e32 v213, 0x10e0, v170
	v_lshlrev_b32_e32 v222, 4, v145
	v_lshlrev_b32_e32 v223, 4, v164
	v_mul_lo_u16 v170, 0x10e, v146
	v_lshlrev_b64 v[167:168], 4, v[187:188]
	v_lshlrev_b32_e32 v224, 4, v165
	v_lshlrev_b32_e32 v225, 4, v166
	;; [unrolled: 1-line block ×3, first 2 shown]
	v_mul_u32_u24_e32 v174, 0x10e0, v174
	v_lshl_add_u32 v171, v171, 4, 0
	s_waitcnt vmcnt(19) lgkmcnt(9)
	v_mul_f64 v[138:139], v[110:111], v[78:79]
	v_mul_f64 v[140:141], v[108:109], v[78:79]
	s_waitcnt vmcnt(18) lgkmcnt(8)
	v_mul_f64 v[78:79], v[106:107], v[50:51]
	v_mul_f64 v[136:137], v[104:105], v[50:51]
	;; [unrolled: 3-line block ×4, first 2 shown]
	v_fma_f64 v[193:194], v[108:109], v[76:77], v[138:139]
	v_fma_f64 v[140:141], v[110:111], v[76:77], -v[140:141]
	v_fma_f64 v[104:105], v[104:105], v[48:49], v[78:79]
	ds_load_b128 v[76:79], v148 offset:31104
	ds_load_b128 v[108:111], v148 offset:18144
	v_fma_f64 v[106:107], v[106:107], v[48:49], -v[136:137]
	v_fma_f64 v[100:101], v[100:101], v[68:69], v[50:51]
	v_fma_f64 v[102:103], v[102:103], v[68:69], -v[70:71]
	ds_load_b128 v[68:71], v148 offset:32400
	s_waitcnt vmcnt(10) lgkmcnt(6)
	v_mul_f64 v[138:139], v[114:115], v[18:19]
	v_mul_f64 v[18:19], v[112:113], v[18:19]
	s_waitcnt vmcnt(9) lgkmcnt(4)
	v_mul_f64 v[191:192], v[90:91], v[10:11]
	v_mul_f64 v[10:11], v[88:89], v[10:11]
	;; [unrolled: 3-line block ×3, first 2 shown]
	v_mul_u32_u24_e32 v14, 0x795d, v161
	v_mul_u32_u24_e32 v15, 0x795d, v160
	v_lshlrev_b64 v[159:160], 4, v[181:182]
	v_fma_f64 v[96:97], v[96:97], v[4:5], v[142:143]
	v_lshlrev_b64 v[161:162], 4, v[183:184]
	v_lshlrev_b64 v[181:182], 4, v[189:190]
	s_waitcnt lgkmcnt(1)
	v_mul_f64 v[142:143], v[110:111], v[34:35]
	v_mul_f64 v[34:35], v[108:109], v[34:35]
	;; [unrolled: 1-line block ×4, first 2 shown]
	ds_load_b128 v[48:51], v148 offset:19440
	v_lshrrev_b32_e32 v132, 23, v14
	v_fma_f64 v[98:99], v[98:99], v[4:5], -v[6:7]
	s_waitcnt vmcnt(7) lgkmcnt(1)
	v_mul_f64 v[201:202], v[70:71], v[22:23]
	v_mul_f64 v[22:23], v[68:69], v[22:23]
	ds_load_b128 v[4:7], v157
	v_mul_lo_u16 v132, 0x10e, v132
	s_delay_alu instid0(VALU_DEP_1)
	v_sub_nc_u16 v132, v126, v132
	v_fma_f64 v[112:113], v[112:113], v[16:17], v[138:139]
	v_fma_f64 v[114:115], v[114:115], v[16:17], -v[18:19]
	v_fma_f64 v[191:192], v[88:89], v[8:9], v[191:192]
	v_fma_f64 v[199:200], v[90:91], v[8:9], -v[10:11]
	ds_load_b128 v[8:11], v148 offset:33696
	v_fma_f64 v[176:177], v[177:178], v[12:13], v[136:137]
	v_fma_f64 v[178:179], v[179:180], v[12:13], -v[195:196]
	v_lshrrev_b32_e32 v138, 23, v15
	ds_load_b128 v[14:17], v148 offset:22032
	ds_load_b128 v[88:91], v148 offset:34992
	v_lshrrev_b32_e32 v139, 23, v206
	v_fma_f64 v[108:109], v[108:109], v[32:33], v[142:143]
	v_fma_f64 v[110:111], v[110:111], v[32:33], -v[34:35]
	v_fma_f64 v[76:77], v[76:77], v[28:29], v[183:184]
	v_fma_f64 v[78:79], v[78:79], v[28:29], -v[189:190]
	ds_load_b128 v[30:33], v148 offset:23328
	v_mul_lo_u16 v210, 0x10e, v138
	v_add_co_u32 v138, s0, s8, v159
	v_fma_f64 v[68:69], v[68:69], v[20:21], v[201:202]
	v_fma_f64 v[70:71], v[70:71], v[20:21], -v[22:23]
	ds_load_b128 v[18:21], v148 offset:37584
	v_mul_f64 v[185:186], v[94:95], v[2:3]
	v_mul_f64 v[2:3], v[92:93], v[2:3]
	v_mul_lo_u16 v216, 0x10e, v139
	v_add_co_ci_u32_e64 v139, s0, s9, v160, s0
	s_waitcnt lgkmcnt(3)
	v_mul_f64 v[142:143], v[16:17], v[58:59]
	v_mul_f64 v[58:59], v[14:15], v[58:59]
	v_add_co_u32 v136, s0, s8, v161
	s_delay_alu instid0(VALU_DEP_1)
	v_add_co_ci_u32_e64 v137, s0, s9, v162, s0
	v_add_co_u32 v217, s0, s8, v181
	s_waitcnt vmcnt(3) lgkmcnt(1)
	v_mul_f64 v[22:23], v[32:33], v[54:55]
	v_mul_f64 v[54:55], v[30:31], v[54:55]
	v_add_f64 v[189:190], v[193:194], -v[104:105]
	v_add_co_ci_u32_e64 v218, s0, s9, v182, s0
	v_sub_nc_u16 v221, v125, v210
	s_waitcnt vmcnt(0) lgkmcnt(0)
	v_mul_f64 v[161:162], v[20:21], v[74:75]
	v_sub_nc_u16 v216, v124, v216
	v_add_f64 v[195:196], v[110:111], v[78:79]
	v_fma_f64 v[92:93], v[92:93], v[0:1], v[185:186]
	v_fma_f64 v[94:95], v[94:95], v[0:1], -v[2:3]
	ds_load_b128 v[0:3], v148 offset:20736
	v_mul_f64 v[185:186], v[50:51], v[26:27]
	v_mul_f64 v[197:198], v[48:49], v[26:27]
	ds_load_b128 v[26:29], v148 offset:36288
	v_mul_f64 v[34:35], v[10:11], v[42:43]
	v_mul_f64 v[42:43], v[8:9], v[42:43]
	v_fma_f64 v[180:181], v[30:31], v[52:53], v[22:23]
	v_fma_f64 v[52:53], v[32:33], v[52:53], -v[54:55]
	s_waitcnt lgkmcnt(1)
	v_mul_f64 v[12:13], v[2:3], v[38:39]
	v_mul_f64 v[38:39], v[0:1], v[38:39]
	s_waitcnt lgkmcnt(0)
	v_mul_f64 v[159:160], v[28:29], v[46:47]
	v_fma_f64 v[48:49], v[48:49], v[24:25], v[185:186]
	v_fma_f64 v[50:51], v[50:51], v[24:25], -v[197:198]
	v_add_f64 v[185:186], v[94:95], v[199:200]
	v_fma_f64 v[183:184], v[8:9], v[40:41], v[34:35]
	v_fma_f64 v[42:43], v[10:11], v[40:41], -v[42:43]
	ds_load_b128 v[8:11], v121
	v_mul_f64 v[24:25], v[90:91], v[66:67]
	v_mul_f64 v[66:67], v[88:89], v[66:67]
	;; [unrolled: 1-line block ×3, first 2 shown]
	v_fma_f64 v[74:75], v[14:15], v[56:57], v[142:143]
	v_fma_f64 v[56:57], v[16:17], v[56:57], -v[58:59]
	v_add_f64 v[16:17], v[193:194], v[104:105]
	v_add_f64 v[142:143], v[102:103], v[98:99]
	;; [unrolled: 1-line block ×3, first 2 shown]
	v_fma_f64 v[172:173], v[0:1], v[36:37], v[12:13]
	v_fma_f64 v[38:39], v[2:3], v[36:37], -v[38:39]
	v_mul_f64 v[36:37], v[26:27], v[46:47]
	v_mul_f64 v[46:47], v[86:87], v[62:63]
	ds_load_b128 v[0:3], v158
	v_mul_f64 v[62:63], v[84:85], v[62:63]
	v_mul_u32_u24_e32 v12, 0x10e0, v147
	v_lshlrev_b32_e32 v13, 4, v163
	v_fma_f64 v[159:160], v[26:27], v[44:45], v[159:160]
	s_waitcnt lgkmcnt(1)
	v_add_f64 v[187:188], v[8:9], v[92:93]
	v_add_co_u32 v147, s0, s8, v203
	v_add3_u32 v220, 0, v12, v13
	ds_load_b128 v[12:15], v156
	v_add_co_ci_u32_e64 v219, s0, s9, v204, s0
	v_add_f64 v[201:202], v[48:49], v[68:69]
	v_add_f64 v[203:204], v[50:51], -v[70:71]
	v_add_f64 v[205:206], v[48:49], -v[68:69]
	s_waitcnt lgkmcnt(1)
	v_add_f64 v[30:31], v[2:3], v[102:103]
	v_fma_f64 v[58:59], v[88:89], v[64:65], v[24:25]
	ds_load_b128 v[22:25], v155
	v_fma_f64 v[64:65], v[90:91], v[64:65], -v[66:67]
	v_add_f64 v[66:67], v[82:83], v[140:141]
	v_add_f64 v[88:89], v[80:81], v[193:194]
	;; [unrolled: 1-line block ×5, first 2 shown]
	v_add_f64 v[140:141], v[140:141], -v[106:107]
	v_fma_f64 v[80:81], v[16:17], -0.5, v[80:81]
	v_add_f64 v[100:101], v[100:101], -v[96:97]
	v_fma_f64 v[82:83], v[40:41], -0.5, v[82:83]
	v_add_f64 v[40:41], v[50:51], v[70:71]
	s_waitcnt lgkmcnt(1)
	v_add_f64 v[197:198], v[14:15], v[110:111]
	v_add_f64 v[102:103], v[102:103], -v[98:99]
	v_fma_f64 v[44:45], v[28:29], v[44:45], -v[36:37]
	v_fma_f64 v[46:47], v[84:85], v[60:61], v[46:47]
	v_add_f64 v[84:85], v[10:11], v[94:95]
	ds_load_b128 v[26:29], v154
	v_add_f64 v[36:37], v[92:93], v[191:192]
	v_fma_f64 v[60:61], v[86:87], v[60:61], -v[62:63]
	v_fma_f64 v[62:63], v[18:19], v[72:73], v[161:162]
	v_add_f64 v[86:87], v[112:113], v[176:177]
	v_add_f64 v[161:162], v[114:115], v[178:179]
	v_fma_f64 v[72:73], v[20:21], v[72:73], -v[34:35]
	v_add_f64 v[20:21], v[6:7], v[114:115]
	v_add_f64 v[34:35], v[4:5], v[112:113]
	v_add_f64 v[112:113], v[112:113], -v[176:177]
	v_add_f64 v[92:93], v[92:93], -v[191:192]
	;; [unrolled: 1-line block ×6, first 2 shown]
	v_add_f64 v[32:33], v[30:31], v[98:99]
	v_add_f64 v[18:19], v[66:67], v[106:107]
	;; [unrolled: 1-line block ×4, first 2 shown]
	v_fma_f64 v[88:89], v[90:91], -0.5, v[0:1]
	v_fma_f64 v[90:91], v[142:143], -0.5, v[2:3]
	ds_load_b128 v[0:3], v153
	v_add_f64 v[104:105], v[114:115], -v[178:179]
	v_add_f64 v[30:31], v[54:55], v[96:97]
	s_waitcnt lgkmcnt(2)
	v_add_f64 v[96:97], v[22:23], v[48:49]
	v_fma_f64 v[106:107], v[185:186], -0.5, v[10:11]
	v_add_f64 v[114:115], v[172:173], v[183:184]
	v_add_f64 v[54:55], v[24:25], v[50:51]
	;; [unrolled: 1-line block ×3, first 2 shown]
	s_waitcnt lgkmcnt(1)
	v_add_f64 v[185:186], v[26:27], v[172:173]
	v_add_f64 v[10:11], v[84:85], v[199:200]
	;; [unrolled: 1-line block ×3, first 2 shown]
	v_fma_f64 v[98:99], v[36:37], -0.5, v[8:9]
	v_add_f64 v[8:9], v[187:188], v[191:192]
	v_add_f64 v[187:188], v[74:75], v[58:59]
	v_fma_f64 v[86:87], v[86:87], -0.5, v[4:5]
	v_fma_f64 v[161:162], v[161:162], -0.5, v[6:7]
	v_add_f64 v[191:192], v[56:57], v[64:65]
	v_add_f64 v[6:7], v[20:21], v[178:179]
	;; [unrolled: 1-line block ×3, first 2 shown]
	v_fma_f64 v[176:177], v[193:194], -0.5, v[12:13]
	v_fma_f64 v[178:179], v[195:196], -0.5, v[14:15]
	ds_load_b128 v[12:15], v152
	ds_load_b128 v[34:37], v151
	v_fma_f64 v[193:194], v[201:202], -0.5, v[22:23]
	s_waitcnt lgkmcnt(2)
	v_add_f64 v[201:202], v[0:1], v[74:75]
	v_add_f64 v[48:49], v[180:181], v[159:160]
	;; [unrolled: 1-line block ×3, first 2 shown]
	v_fma_f64 v[195:196], v[40:41], -0.5, v[24:25]
	v_add_f64 v[199:200], v[2:3], v[56:57]
	v_add_f64 v[108:109], v[108:109], -v[76:77]
	v_add_f64 v[172:173], v[172:173], -v[183:184]
	;; [unrolled: 1-line block ×3, first 2 shown]
	v_add_f64 v[22:23], v[197:198], v[78:79]
	v_add_co_u32 v197, s0, 0x1000, v134
	s_delay_alu instid0(VALU_DEP_1)
	v_add_co_ci_u32_e64 v198, s0, 0, v135, s0
	v_add_f64 v[20:21], v[66:67], v[76:77]
	v_add_co_u32 v182, s0, 0x1040, v134
	s_waitcnt lgkmcnt(0)
	v_add_f64 v[66:67], v[12:13], v[180:181]
	v_add_f64 v[38:39], v[96:97], v[68:69]
	;; [unrolled: 1-line block ×3, first 2 shown]
	v_fma_f64 v[96:97], v[114:115], -0.5, v[26:27]
	v_add_f64 v[40:41], v[54:55], v[70:71]
	v_add_f64 v[54:55], v[14:15], v[52:53]
	;; [unrolled: 1-line block ×6, first 2 shown]
	v_fma_f64 v[28:29], v[142:143], -0.5, v[28:29]
	v_add_f64 v[24:25], v[185:186], v[183:184]
	v_fma_f64 v[114:115], v[187:188], -0.5, v[0:1]
	v_add_f64 v[184:185], v[56:57], -v[64:65]
	v_fma_f64 v[142:143], v[191:192], -0.5, v[2:3]
	v_add_f64 v[191:192], v[74:75], -v[58:59]
	v_lshlrev_b32_e32 v56, 4, v144
	v_add_f64 v[144:145], v[52:53], -v[44:45]
	v_sub_nc_u16 v188, v127, v170
	v_add_f64 v[169:170], v[46:47], -v[62:63]
	v_fma_f64 v[46:47], v[140:141], s[10:11], v[80:81]
	v_add_f64 v[0:1], v[201:202], v[58:59]
	v_fma_f64 v[180:181], v[48:49], -0.5, v[12:13]
	v_fma_f64 v[201:202], v[50:51], -0.5, v[14:15]
	v_add3_u32 v227, 0, v209, v56
	v_fma_f64 v[48:49], v[189:190], s[4:5], v[82:83]
	v_fma_f64 v[50:51], v[102:103], s[4:5], v[88:89]
	;; [unrolled: 1-line block ×6, first 2 shown]
	v_add_f64 v[2:3], v[199:200], v[64:65]
	v_fma_f64 v[64:65], v[92:93], s[4:5], v[106:107]
	v_fma_f64 v[74:75], v[110:111], s[4:5], v[176:177]
	v_fma_f64 v[78:79], v[110:111], s[10:11], v[176:177]
	v_fma_f64 v[84:85], v[205:206], s[10:11], v[195:196]
	v_add_co_ci_u32_e64 v183, s0, 0, v135, s0
	v_add_f64 v[12:13], v[66:67], v[159:160]
	v_fma_f64 v[66:67], v[104:105], s[4:5], v[86:87]
	v_fma_f64 v[159:160], v[68:69], -0.5, v[34:35]
	v_fma_f64 v[68:69], v[112:113], s[10:11], v[161:162]
	v_fma_f64 v[90:91], v[207:208], s[4:5], v[96:97]
	v_add_f64 v[14:15], v[54:55], v[44:45]
	v_fma_f64 v[44:45], v[189:190], s[10:11], v[82:83]
	v_fma_f64 v[54:55], v[102:103], s[10:11], v[88:89]
	v_add_f64 v[34:35], v[76:77], v[62:63]
	v_fma_f64 v[209:210], v[42:43], -0.5, v[36:37]
	v_fma_f64 v[42:43], v[140:141], s[4:5], v[80:81]
	v_fma_f64 v[62:63], v[94:95], s[10:11], v[98:99]
	v_add_f64 v[36:37], v[70:71], v[72:73]
	v_fma_f64 v[70:71], v[104:105], s[10:11], v[86:87]
	v_fma_f64 v[72:73], v[112:113], s[4:5], v[161:162]
	;; [unrolled: 1-line block ×18, first 2 shown]
	v_add_co_u32 v186, s0, 0x1000, v138
	s_delay_alu instid0(VALU_DEP_1) | instskip(SKIP_1) | instid1(VALU_DEP_1)
	v_add_co_ci_u32_e64 v187, s0, 0, v139, s0
	v_add_co_u32 v199, s0, 0x1040, v138
	v_add_co_ci_u32_e64 v200, s0, 0, v139, s0
	v_add3_u32 v28, 0, v212, v222
	v_fma_f64 v[140:141], v[165:166], s[4:5], v[159:160]
	v_fma_f64 v[159:160], v[165:166], s[10:11], v[159:160]
	v_add3_u32 v29, 0, v213, v223
	v_add3_u32 v114, 0, v214, v224
	;; [unrolled: 1-line block ×4, first 2 shown]
	s_barrier
	v_fma_f64 v[142:143], v[169:170], s[10:11], v[209:210]
	v_fma_f64 v[161:162], v[169:170], s[4:5], v[209:210]
	buffer_gl0_inv
	ds_store_b128 v148, v[16:19]
	ds_store_b128 v148, v[42:45] offset:1440
	ds_store_b128 v148, v[46:49] offset:2880
	ds_store_b128 v211, v[30:33]
	ds_store_b128 v211, v[50:53] offset:1440
	ds_store_b128 v211, v[54:57] offset:2880
	;; [unrolled: 3-line block ×9, first 2 shown]
	ds_store_b128 v171, v[34:37] offset:34560
	ds_store_b128 v171, v[140:143] offset:36000
	;; [unrolled: 1-line block ×3, first 2 shown]
	s_waitcnt lgkmcnt(0)
	s_barrier
	buffer_gl0_inv
	global_load_b128 v[76:79], v[197:198], off offset:64
	v_add_co_u32 v0, s0, 0x1000, v136
	s_delay_alu instid0(VALU_DEP_1) | instskip(SKIP_4) | instid1(VALU_DEP_1)
	v_add_co_ci_u32_e64 v1, s0, 0, v137, s0
	s_clause 0x1
	global_load_b128 v[72:75], v[182:183], off offset:16
	global_load_b128 v[68:71], v[186:187], off offset:64
	v_add_co_u32 v2, s0, 0x1040, v136
	v_add_co_ci_u32_e64 v3, s0, 0, v137, s0
	v_add_co_u32 v8, s0, s8, v167
	s_delay_alu instid0(VALU_DEP_1) | instskip(SKIP_1) | instid1(VALU_DEP_1)
	v_add_co_ci_u32_e64 v9, s0, s9, v168, s0
	v_add_co_u32 v4, s0, 0x1000, v217
	v_add_co_ci_u32_e64 v5, s0, 0, v218, s0
	s_clause 0x1
	global_load_b128 v[64:67], v[199:200], off offset:16
	global_load_b128 v[56:59], v[0:1], off offset:64
	v_add_co_u32 v0, s0, 0x1040, v217
	s_delay_alu instid0(VALU_DEP_1) | instskip(SKIP_1) | instid1(VALU_DEP_1)
	v_add_co_ci_u32_e64 v1, s0, 0, v218, s0
	v_add_co_u32 v6, s0, 0x1000, v8
	v_add_co_ci_u32_e64 v7, s0, 0, v9, s0
	s_clause 0x1
	global_load_b128 v[60:63], v[2:3], off offset:16
	global_load_b128 v[32:35], v[0:1], off offset:16
	v_add_co_u32 v2, s0, 0x1000, v147
	global_load_b128 v[44:47], v[6:7], off offset:64
	v_add_co_ci_u32_e64 v3, s0, 0, v219, s0
	v_add_co_u32 v6, s0, 0x1040, v8
	s_delay_alu instid0(VALU_DEP_1)
	v_add_co_ci_u32_e64 v7, s0, 0, v9, s0
	v_and_b32_e32 v140, 0xffff, v188
	v_and_b32_e32 v141, 0xffff, v132
	s_clause 0x2
	global_load_b128 v[52:55], v[4:5], off offset:64
	global_load_b128 v[40:43], v[2:3], off offset:64
	;; [unrolled: 1-line block ×3, first 2 shown]
	v_and_b32_e32 v142, 0xffff, v221
	v_add_co_u32 v8, s0, 0x1040, v147
	v_lshlrev_b32_e32 v4, 5, v140
	v_add_co_ci_u32_e64 v9, s0, 0, v219, s0
	v_lshlrev_b32_e32 v0, 5, v141
	v_lshlrev_b32_e32 v1, 5, v142
	s_delay_alu instid0(VALU_DEP_4) | instskip(SKIP_3) | instid1(VALU_DEP_1)
	v_add_co_u32 v4, s0, s8, v4
	global_load_b128 v[36:39], v[8:9], off offset:16
	v_add_co_ci_u32_e64 v5, null, s9, 0, s0
	v_add_co_u32 v7, s0, s8, v0
	v_add_co_ci_u32_e64 v10, null, s9, 0, s0
	v_add_co_u32 v11, s0, s8, v1
	s_delay_alu instid0(VALU_DEP_1) | instskip(SKIP_1) | instid1(VALU_DEP_1)
	v_add_co_ci_u32_e64 v16, null, s9, 0, s0
	v_add_co_u32 v0, s0, 0x1000, v4
	v_add_co_ci_u32_e64 v1, s0, 0, v5, s0
	v_add_co_u32 v2, s0, 0x1040, v4
	s_delay_alu instid0(VALU_DEP_1)
	v_add_co_ci_u32_e64 v3, s0, 0, v5, s0
	v_and_b32_e32 v143, 0xffff, v216
	v_add_co_u32 v4, s0, 0x1000, v7
	s_clause 0x1
	global_load_b128 v[28:31], v[0:1], off offset:64
	global_load_b128 v[20:23], v[2:3], off offset:16
	v_add_co_ci_u32_e64 v5, s0, 0, v10, s0
	v_lshlrev_b32_e32 v6, 5, v143
	v_add_co_u32 v0, s0, 0x1040, v7
	s_delay_alu instid0(VALU_DEP_1) | instskip(NEXT) | instid1(VALU_DEP_3)
	v_add_co_ci_u32_e64 v1, s0, 0, v10, s0
	v_add_co_u32 v18, s0, s8, v6
	s_delay_alu instid0(VALU_DEP_1) | instskip(SKIP_4) | instid1(VALU_DEP_1)
	v_add_co_ci_u32_e64 v19, null, s9, 0, s0
	s_clause 0x1
	global_load_b128 v[12:15], v[4:5], off offset:64
	global_load_b128 v[0:3], v[0:1], off offset:16
	v_add_co_u32 v4, s0, 0x1000, v11
	v_add_co_ci_u32_e64 v5, s0, 0, v16, s0
	v_add_co_u32 v8, s0, 0x1040, v11
	s_delay_alu instid0(VALU_DEP_1)
	v_add_co_ci_u32_e64 v9, s0, 0, v16, s0
	global_load_b128 v[4:7], v[4:5], off offset:64
	v_add_co_u32 v16, s0, 0x1000, v18
	global_load_b128 v[8:11], v[8:9], off offset:16
	v_add_co_ci_u32_e64 v17, s0, 0, v19, s0
	v_add_co_u32 v18, s0, 0x1040, v18
	s_delay_alu instid0(VALU_DEP_1)
	v_add_co_ci_u32_e64 v19, s0, 0, v19, s0
	s_clause 0x1
	global_load_b128 v[24:27], v[16:17], off offset:64
	global_load_b128 v[16:19], v[18:19], off offset:16
	ds_load_b128 v[100:103], v148 offset:12960
	ds_load_b128 v[92:95], v148 offset:25920
	;; [unrolled: 1-line block ×5, first 2 shown]
	ds_load_b128 v[96:99], v148
	ds_load_b128 v[108:111], v148 offset:28512
	ds_load_b128 v[163:166], v148 offset:29808
	;; [unrolled: 1-line block ×4, first 2 shown]
	v_lshlrev_b32_e32 v145, 4, v175
	ds_load_b128 v[167:170], v148 offset:18144
	ds_load_b128 v[171:174], v148 offset:31104
	v_cmp_lt_u32_e64 s0, 26, v116
	v_lshlrev_b32_e32 v132, 1, v130
	v_mul_u32_u24_e32 v147, 0x32a0, v146
	v_lshlrev_b32_e32 v229, 4, v140
	v_lshl_add_u32 v230, v141, 4, 0
	v_cndmask_b32_e64 v144, 0, 0x32a0, s0
	v_add_co_u32 v185, s0, 0x3000, v134
	s_delay_alu instid0(VALU_DEP_1) | instskip(SKIP_1) | instid1(VALU_DEP_1)
	v_add_co_ci_u32_e64 v186, s0, 0, v135, s0
	v_add_co_u32 v191, s0, 0x3200, v134
	v_add_co_ci_u32_e64 v192, s0, 0, v135, s0
	v_add3_u32 v144, 0, v144, v145
	v_lshlrev_b64 v[145:146], 4, v[132:133]
	v_lshlrev_b32_e32 v132, 1, v129
	v_lshl_add_u32 v231, v142, 4, 0
	v_lshl_add_u32 v232, v143, 4, 0
	s_delay_alu instid0(VALU_DEP_3)
	v_lshlrev_b64 v[134:135], 4, v[132:133]
	v_lshlrev_b32_e32 v132, 1, v128
	s_waitcnt vmcnt(19) lgkmcnt(11)
	v_mul_f64 v[112:113], v[102:103], v[78:79]
	v_mul_f64 v[78:79], v[100:101], v[78:79]
	s_waitcnt vmcnt(18) lgkmcnt(10)
	v_mul_f64 v[114:115], v[94:95], v[74:75]
	v_mul_f64 v[74:75], v[92:93], v[74:75]
	;; [unrolled: 3-line block ×7, first 2 shown]
	s_waitcnt vmcnt(12)
	v_mul_f64 v[193:194], v[161:162], v[46:47]
	v_mul_f64 v[46:47], v[159:160], v[46:47]
	v_fma_f64 v[100:101], v[100:101], v[76:77], v[112:113]
	v_fma_f64 v[102:103], v[102:103], v[76:77], -v[78:79]
	ds_load_b128 v[76:79], v148 offset:19440
	s_waitcnt vmcnt(9)
	v_mul_f64 v[112:113], v[165:166], v[50:51]
	v_mul_f64 v[50:51], v[163:164], v[50:51]
	v_fma_f64 v[92:93], v[92:93], v[72:73], v[114:115]
	v_fma_f64 v[74:75], v[94:95], v[72:73], -v[74:75]
	ds_load_b128 v[70:73], v148 offset:32400
	v_mul_f64 v[94:95], v[169:170], v[54:55]
	v_mul_f64 v[114:115], v[167:168], v[54:55]
	v_fma_f64 v[88:89], v[88:89], v[68:69], v[175:176]
	v_fma_f64 v[90:91], v[90:91], v[68:69], -v[177:178]
	ds_load_b128 v[66:69], v148 offset:20736
	v_add_co_u32 v175, s0, 0x3000, v138
	s_delay_alu instid0(VALU_DEP_1)
	v_add_co_ci_u32_e64 v176, s0, 0, v139, s0
	v_fma_f64 v[177:178], v[80:81], v[64:65], v[179:180]
	v_fma_f64 v[179:180], v[82:83], v[64:65], -v[181:182]
	ds_load_b128 v[62:65], v148 offset:33696
	s_waitcnt lgkmcnt(3)
	v_mul_f64 v[181:182], v[78:79], v[42:43]
	v_mul_f64 v[197:198], v[76:77], v[42:43]
	v_fma_f64 v[84:85], v[84:85], v[56:57], v[183:184]
	v_fma_f64 v[86:87], v[86:87], v[56:57], -v[58:59]
	ds_load_b128 v[54:57], v148 offset:22032
	ds_load_b128 v[80:83], v148 offset:34992
	v_fma_f64 v[108:109], v[108:109], v[60:61], v[187:188]
	v_add_co_u32 v187, s0, 0x3200, v138
	v_fma_f64 v[110:111], v[110:111], v[60:61], -v[189:190]
	ds_load_b128 v[58:61], v157
	s_waitcnt vmcnt(8) lgkmcnt(5)
	v_mul_f64 v[183:184], v[72:73], v[38:39]
	v_mul_f64 v[38:39], v[70:71], v[38:39]
	v_add_co_ci_u32_e64 v188, s0, 0, v139, s0
	v_fma_f64 v[138:139], v[159:160], v[44:45], v[193:194]
	v_fma_f64 v[159:160], v[161:162], v[44:45], -v[46:47]
	ds_load_b128 v[42:45], v148 offset:23328
	s_waitcnt vmcnt(7) lgkmcnt(5)
	v_mul_f64 v[161:162], v[68:69], v[30:31]
	v_mul_f64 v[30:31], v[66:67], v[30:31]
	v_add_f64 v[201:202], v[96:97], v[100:101]
	v_fma_f64 v[112:113], v[163:164], v[48:49], v[112:113]
	v_fma_f64 v[163:164], v[165:166], v[48:49], -v[50:51]
	s_waitcnt vmcnt(6) lgkmcnt(4)
	v_mul_f64 v[165:166], v[64:65], v[22:23]
	v_mul_f64 v[22:23], v[62:63], v[22:23]
	v_add_f64 v[199:200], v[98:99], v[102:103]
	v_fma_f64 v[94:95], v[167:168], v[52:53], v[94:95]
	v_fma_f64 v[114:115], v[169:170], v[52:53], -v[114:115]
	ds_load_b128 v[46:49], v148 offset:36288
	ds_load_b128 v[50:53], v148 offset:37584
	v_fma_f64 v[169:170], v[171:172], v[32:33], v[195:196]
	v_fma_f64 v[171:172], v[173:174], v[32:33], -v[34:35]
	v_add_co_u32 v173, s0, 0x3000, v136
	s_delay_alu instid0(VALU_DEP_1)
	v_add_co_ci_u32_e64 v174, s0, 0, v137, s0
	s_waitcnt vmcnt(4) lgkmcnt(4)
	v_mul_f64 v[32:33], v[82:83], v[2:3]
	v_mul_f64 v[2:3], v[80:81], v[2:3]
	s_waitcnt vmcnt(3) lgkmcnt(2)
	v_mul_f64 v[34:35], v[44:45], v[6:7]
	v_fma_f64 v[76:77], v[76:77], v[40:41], v[181:182]
	v_add_co_u32 v181, s0, 0x3200, v136
	v_mul_f64 v[6:7], v[42:43], v[6:7]
	v_mul_f64 v[167:168], v[56:57], v[14:15]
	v_mul_f64 v[14:15], v[54:55], v[14:15]
	v_fma_f64 v[40:41], v[78:79], v[40:41], -v[197:198]
	v_add_co_ci_u32_e64 v182, s0, 0, v137, s0
	s_waitcnt vmcnt(2) lgkmcnt(1)
	v_mul_f64 v[78:79], v[48:49], v[10:11]
	s_waitcnt vmcnt(1)
	v_mul_f64 v[136:137], v[106:107], v[26:27]
	v_fma_f64 v[70:71], v[70:71], v[36:37], v[183:184]
	v_fma_f64 v[72:73], v[72:73], v[36:37], -v[38:39]
	v_mul_f64 v[36:37], v[104:105], v[26:27]
	v_add_co_u32 v213, s0, s8, v145
	v_mul_f64 v[10:11], v[46:47], v[10:11]
	v_add_co_ci_u32_e64 v214, s0, s9, v146, s0
	s_waitcnt vmcnt(0) lgkmcnt(0)
	v_mul_f64 v[145:146], v[50:51], v[18:19]
	v_fma_f64 v[66:67], v[66:67], v[28:29], v[161:162]
	v_add_f64 v[161:162], v[100:101], v[92:93]
	v_mul_f64 v[38:39], v[52:53], v[18:19]
	v_fma_f64 v[68:69], v[68:69], v[28:29], -v[30:31]
	v_fma_f64 v[62:63], v[62:63], v[20:21], v[165:166]
	v_fma_f64 v[64:65], v[64:65], v[20:21], -v[22:23]
	v_add_f64 v[165:166], v[102:103], v[74:75]
	ds_load_b128 v[18:21], v158
	ds_load_b128 v[26:29], v121
	v_add_f64 v[189:190], v[90:91], v[179:180]
	v_add_f64 v[197:198], v[159:160], v[163:164]
	v_add_f64 v[195:196], v[86:87], v[110:111]
	v_add_f64 v[193:194], v[84:85], v[108:109]
	v_add_f64 v[203:204], v[58:59], v[138:139]
	v_add_f64 v[100:101], v[100:101], -v[92:93]
	v_add_f64 v[102:103], v[102:103], -v[74:75]
	v_fma_f64 v[80:81], v[80:81], v[0:1], v[32:33]
	v_fma_f64 v[82:83], v[82:83], v[0:1], -v[2:3]
	v_fma_f64 v[42:43], v[42:43], v[4:5], v[34:35]
	v_add_f64 v[34:35], v[138:139], v[112:113]
	v_add_f64 v[138:139], v[138:139], -v[112:113]
	v_lshlrev_b64 v[183:184], 4, v[132:133]
	v_fma_f64 v[44:45], v[44:45], v[4:5], -v[6:7]
	ds_load_b128 v[0:3], v156
	ds_load_b128 v[4:7], v155
	v_fma_f64 v[54:55], v[54:55], v[12:13], v[167:168]
	v_fma_f64 v[56:57], v[56:57], v[12:13], -v[14:15]
	v_add_f64 v[167:168], v[88:89], v[177:178]
	v_lshlrev_b32_e32 v132, 1, v127
	v_fma_f64 v[46:47], v[46:47], v[8:9], v[78:79]
	v_fma_f64 v[78:79], v[104:105], v[24:25], v[136:137]
	s_waitcnt lgkmcnt(2)
	v_add_f64 v[136:137], v[26:27], v[84:85]
	v_add_f64 v[207:208], v[76:77], v[70:71]
	v_fma_f64 v[104:105], v[106:107], v[24:25], -v[36:37]
	v_add_f64 v[36:37], v[20:21], v[90:91]
	v_add_f64 v[106:107], v[28:29], v[86:87]
	v_fma_f64 v[48:49], v[48:49], v[8:9], -v[10:11]
	v_add_f64 v[209:210], v[40:41], v[72:73]
	ds_load_b128 v[8:11], v154
	ds_load_b128 v[12:15], v153
	v_fma_f64 v[52:53], v[52:53], v[16:17], -v[145:146]
	v_add_f64 v[145:146], v[60:61], v[159:160]
	v_fma_f64 v[96:97], v[161:162], -0.5, v[96:97]
	v_add_f64 v[161:162], v[94:95], v[169:170]
	v_fma_f64 v[50:51], v[50:51], v[16:17], v[38:39]
	v_add_f64 v[38:39], v[18:19], v[88:89]
	s_waitcnt lgkmcnt(3)
	v_add_f64 v[205:206], v[0:1], v[94:95]
	v_fma_f64 v[98:99], v[165:166], -0.5, v[98:99]
	v_add_f64 v[165:166], v[114:115], v[171:172]
	v_fma_f64 v[189:190], v[189:190], -0.5, v[20:21]
	;; [unrolled: 2-line block ×3, first 2 shown]
	v_add_f64 v[60:61], v[68:69], v[64:65]
	v_add_f64 v[16:17], v[201:202], v[92:93]
	s_waitcnt lgkmcnt(2)
	v_add_f64 v[92:93], v[4:5], v[76:77]
	ds_load_b128 v[22:25], v152
	ds_load_b128 v[30:33], v151
	v_fma_f64 v[195:196], v[195:196], -0.5, v[28:29]
	v_add_f64 v[84:85], v[84:85], -v[108:109]
	v_add_f64 v[159:160], v[159:160], -v[163:164]
	v_fma_f64 v[211:212], v[34:35], -0.5, v[58:59]
	v_add_f64 v[58:59], v[66:67], v[62:63]
	v_fma_f64 v[193:194], v[193:194], -0.5, v[26:27]
	v_add_f64 v[90:91], v[90:91], -v[179:180]
	v_add_f64 v[88:89], v[88:89], -v[177:178]
	;; [unrolled: 1-line block ×4, first 2 shown]
	v_fma_f64 v[167:168], v[167:168], -0.5, v[18:19]
	v_add_f64 v[18:19], v[199:200], v[74:75]
	v_add_f64 v[74:75], v[6:7], v[40:41]
	v_add_f64 v[199:200], v[40:41], -v[72:73]
	v_add_f64 v[34:35], v[136:137], v[108:109]
	v_add_f64 v[108:109], v[56:57], v[82:83]
	v_add_f64 v[114:115], v[114:115], -v[171:172]
	v_add_f64 v[28:29], v[36:37], v[179:180]
	v_add_f64 v[36:37], v[106:107], v[110:111]
	;; [unrolled: 1-line block ×3, first 2 shown]
	s_waitcnt lgkmcnt(3)
	v_add_f64 v[179:180], v[8:9], v[66:67]
	s_waitcnt lgkmcnt(2)
	v_add_f64 v[110:111], v[14:15], v[56:57]
	v_add_f64 v[140:141], v[66:67], -v[62:63]
	v_add_f64 v[40:41], v[145:146], v[163:164]
	v_add_f64 v[163:164], v[44:45], v[48:49]
	v_fma_f64 v[136:137], v[161:162], -0.5, v[0:1]
	v_add_f64 v[161:162], v[42:43], v[46:47]
	v_add_f64 v[26:27], v[38:39], v[177:178]
	;; [unrolled: 1-line block ×5, first 2 shown]
	v_fma_f64 v[145:146], v[165:166], -0.5, v[2:3]
	v_add_f64 v[2:3], v[20:21], v[171:172]
	s_waitcnt lgkmcnt(1)
	v_add_f64 v[20:21], v[24:25], v[44:45]
	v_add_f64 v[165:166], v[22:23], v[42:43]
	;; [unrolled: 1-line block ×3, first 2 shown]
	v_fma_f64 v[169:170], v[207:208], -0.5, v[4:5]
	v_fma_f64 v[207:208], v[60:61], -0.5, v[10:11]
	s_waitcnt lgkmcnt(0)
	v_add_f64 v[60:61], v[30:31], v[78:79]
	v_add_f64 v[177:178], v[10:11], v[68:69]
	v_fma_f64 v[171:172], v[209:210], -0.5, v[6:7]
	v_add_co_u32 v209, s0, 0x3000, v213
	v_fma_f64 v[205:206], v[58:59], -0.5, v[8:9]
	v_add_f64 v[58:59], v[32:33], v[104:105]
	v_add_co_ci_u32_e64 v210, s0, 0, v214, s0
	v_add_co_u32 v213, s0, 0x3200, v213
	v_add_f64 v[4:5], v[92:93], v[70:71]
	v_add_f64 v[92:93], v[76:77], -v[70:71]
	v_add_f64 v[112:113], v[12:13], v[54:55]
	v_add_co_ci_u32_e64 v214, s0, 0, v214, s0
	v_add_co_u32 v227, s0, s8, v134
	s_delay_alu instid0(VALU_DEP_1)
	v_add_co_ci_u32_e64 v228, s0, s9, v135, s0
	v_add_f64 v[134:135], v[68:69], -v[64:65]
	v_add_f64 v[215:216], v[56:57], -v[82:83]
	v_add_f64 v[217:218], v[54:55], -v[80:81]
	v_add_f64 v[223:224], v[104:105], -v[52:53]
	v_fma_f64 v[104:105], v[106:107], -0.5, v[12:13]
	v_fma_f64 v[106:107], v[108:109], -0.5, v[14:15]
	v_add_f64 v[219:220], v[44:45], -v[48:49]
	v_add_f64 v[221:222], v[42:43], -v[46:47]
	v_fma_f64 v[108:109], v[161:162], -0.5, v[22:23]
	v_fma_f64 v[24:25], v[163:164], -0.5, v[24:25]
	v_add_f64 v[225:226], v[78:79], -v[50:51]
	v_fma_f64 v[161:162], v[201:202], -0.5, v[30:31]
	v_fma_f64 v[163:164], v[203:204], -0.5, v[32:33]
	v_fma_f64 v[42:43], v[102:103], s[4:5], v[96:97]
	v_fma_f64 v[44:45], v[100:101], s[10:11], v[98:99]
	v_add_f64 v[22:23], v[20:21], v[48:49]
	v_add_f64 v[20:21], v[165:166], v[46:47]
	v_fma_f64 v[46:47], v[102:103], s[10:11], v[96:97]
	v_fma_f64 v[48:49], v[100:101], s[4:5], v[98:99]
	v_add_f64 v[30:31], v[60:61], v[50:51]
	v_fma_f64 v[50:51], v[90:91], s[4:5], v[167:168]
	v_fma_f64 v[54:55], v[90:91], s[10:11], v[167:168]
	v_fma_f64 v[56:57], v[88:89], s[4:5], v[189:190]
	v_fma_f64 v[60:61], v[84:85], s[10:11], v[195:196]
	v_add_f64 v[32:33], v[58:59], v[52:53]
	v_fma_f64 v[52:53], v[88:89], s[10:11], v[189:190]
	v_fma_f64 v[58:59], v[86:87], s[4:5], v[193:194]
	v_add_f64 v[10:11], v[177:178], v[64:65]
	v_add_f64 v[8:9], v[179:180], v[62:63]
	v_fma_f64 v[62:63], v[86:87], s[10:11], v[193:194]
	v_fma_f64 v[64:65], v[84:85], s[4:5], v[195:196]
	;; [unrolled: 1-line block ×4, first 2 shown]
	v_add_f64 v[6:7], v[74:75], v[72:73]
	v_fma_f64 v[70:71], v[159:160], s[10:11], v[211:212]
	v_fma_f64 v[72:73], v[138:139], s[4:5], v[197:198]
	;; [unrolled: 1-line block ×4, first 2 shown]
	v_add_f64 v[14:15], v[110:111], v[82:83]
	v_fma_f64 v[82:83], v[199:200], s[4:5], v[169:170]
	v_fma_f64 v[84:85], v[92:93], s[10:11], v[171:172]
	v_add_f64 v[12:13], v[112:113], v[80:81]
	v_fma_f64 v[78:79], v[114:115], s[10:11], v[136:137]
	v_fma_f64 v[80:81], v[94:95], s[4:5], v[145:146]
	;; [unrolled: 1-line block ×20, first 2 shown]
	v_add3_u32 v114, 0, v147, v229
	s_barrier
	buffer_gl0_inv
	ds_store_b128 v148, v[16:19]
	ds_store_b128 v148, v[42:45] offset:4320
	ds_store_b128 v148, v[46:49] offset:8640
	ds_store_b128 v158, v[26:29]
	ds_store_b128 v158, v[50:53] offset:4320
	ds_store_b128 v158, v[54:57] offset:8640
	;; [unrolled: 3-line block ×4, first 2 shown]
	ds_store_b128 v148, v[0:3] offset:13824
	ds_store_b128 v148, v[4:7] offset:15120
	;; [unrolled: 1-line block ×6, first 2 shown]
	ds_store_b128 v114, v[8:11]
	ds_store_b128 v114, v[90:93] offset:4320
	ds_store_b128 v114, v[94:97] offset:8640
	;; [unrolled: 1-line block ×11, first 2 shown]
	s_waitcnt lgkmcnt(0)
	s_barrier
	buffer_gl0_inv
	s_clause 0x5
	global_load_b128 v[32:35], v[185:186], off offset:512
	global_load_b128 v[44:47], v[181:182], off offset:16
	;; [unrolled: 1-line block ×6, first 2 shown]
	v_add_co_u32 v24, s0, 0x3000, v227
	s_delay_alu instid0(VALU_DEP_1) | instskip(SKIP_1) | instid1(VALU_DEP_1)
	v_add_co_ci_u32_e64 v25, s0, 0, v228, s0
	v_add_co_u32 v0, s0, 0x3200, v227
	v_add_co_ci_u32_e64 v1, s0, 0, v228, s0
	v_add_co_u32 v6, s0, s8, v183
	s_delay_alu instid0(VALU_DEP_1) | instskip(SKIP_1) | instid1(VALU_DEP_3)
	v_add_co_ci_u32_e64 v7, s0, s9, v184, s0
	v_lshlrev_b64 v[142:143], 4, v[132:133]
	v_add_co_u32 v4, s0, 0x3000, v6
	s_delay_alu instid0(VALU_DEP_1) | instskip(SKIP_1) | instid1(VALU_DEP_1)
	v_add_co_ci_u32_e64 v5, s0, 0, v7, s0
	v_add_co_u32 v6, s0, 0x3200, v6
	v_add_co_ci_u32_e64 v7, s0, 0, v7, s0
	v_lshlrev_b32_e32 v132, 1, v126
	v_add_co_u32 v12, s0, s8, v142
	s_delay_alu instid0(VALU_DEP_1)
	v_add_co_ci_u32_e64 v13, s0, s9, v143, s0
	s_clause 0x1
	global_load_b128 v[76:79], v[209:210], off offset:512
	global_load_b128 v[68:71], v[213:214], off offset:16
	v_lshlrev_b64 v[2:3], 4, v[132:133]
	v_add_co_u32 v10, s0, 0x3000, v12
	s_delay_alu instid0(VALU_DEP_1)
	v_add_co_ci_u32_e64 v11, s0, 0, v13, s0
	v_add_co_u32 v12, s0, 0x3200, v12
	s_clause 0x3
	global_load_b128 v[72:75], v[24:25], off offset:512
	global_load_b128 v[48:51], v[6:7], off offset:16
	;; [unrolled: 1-line block ×4, first 2 shown]
	v_add_co_ci_u32_e64 v13, s0, 0, v13, s0
	v_lshlrev_b32_e32 v132, 1, v125
	v_add_co_u32 v2, s0, s8, v2
	s_delay_alu instid0(VALU_DEP_1) | instskip(NEXT) | instid1(VALU_DEP_3)
	v_add_co_ci_u32_e64 v3, s0, s9, v3, s0
	v_lshlrev_b64 v[8:9], 4, v[132:133]
	s_delay_alu instid0(VALU_DEP_3) | instskip(NEXT) | instid1(VALU_DEP_1)
	v_add_co_u32 v16, s0, 0x3000, v2
	v_add_co_ci_u32_e64 v17, s0, 0, v3, s0
	v_add_co_u32 v18, s0, 0x3200, v2
	s_delay_alu instid0(VALU_DEP_1) | instskip(SKIP_2) | instid1(VALU_DEP_1)
	v_add_co_ci_u32_e64 v19, s0, 0, v3, s0
	v_lshlrev_b32_e32 v132, 1, v124
	v_add_co_u32 v4, s0, s8, v8
	v_add_co_ci_u32_e64 v5, s0, s9, v9, s0
	s_delay_alu instid0(VALU_DEP_3) | instskip(NEXT) | instid1(VALU_DEP_3)
	v_lshlrev_b64 v[14:15], 4, v[132:133]
	v_add_co_u32 v20, s0, 0x3000, v4
	s_delay_alu instid0(VALU_DEP_1) | instskip(SKIP_4) | instid1(VALU_DEP_1)
	v_add_co_ci_u32_e64 v21, s0, 0, v5, s0
	s_clause 0x1
	global_load_b128 v[36:39], v[10:11], off offset:512
	global_load_b128 v[0:3], v[12:13], off offset:16
	v_add_co_u32 v12, s0, 0x3200, v4
	v_add_co_ci_u32_e64 v13, s0, 0, v5, s0
	v_add_co_u32 v24, s0, s8, v14
	s_delay_alu instid0(VALU_DEP_1) | instskip(SKIP_4) | instid1(VALU_DEP_1)
	v_add_co_ci_u32_e64 v25, s0, s9, v15, s0
	s_clause 0x1
	global_load_b128 v[8:11], v[16:17], off offset:512
	global_load_b128 v[4:7], v[18:19], off offset:16
	v_add_co_u32 v22, s0, 0x3000, v24
	v_add_co_ci_u32_e64 v23, s0, 0, v25, s0
	v_add_co_u32 v24, s0, 0x3200, v24
	s_delay_alu instid0(VALU_DEP_1)
	v_add_co_ci_u32_e64 v25, s0, 0, v25, s0
	s_clause 0x3
	global_load_b128 v[16:19], v[20:21], off offset:512
	global_load_b128 v[12:15], v[12:13], off offset:16
	;; [unrolled: 1-line block ×4, first 2 shown]
	ds_load_b128 v[80:83], v148 offset:12960
	ds_load_b128 v[84:87], v148 offset:25920
	;; [unrolled: 1-line block ×5, first 2 shown]
	ds_load_b128 v[100:103], v148
	ds_load_b128 v[104:107], v148 offset:28512
	ds_load_b128 v[108:111], v148 offset:24624
	;; [unrolled: 1-line block ×9, first 2 shown]
	s_waitcnt vmcnt(19) lgkmcnt(14)
	v_mul_f64 v[146:147], v[82:83], v[34:35]
	v_mul_f64 v[34:35], v[80:81], v[34:35]
	s_waitcnt vmcnt(17) lgkmcnt(13)
	v_mul_f64 v[171:172], v[86:87], v[30:31]
	v_mul_f64 v[173:174], v[84:85], v[30:31]
	s_waitcnt vmcnt(15) lgkmcnt(12)
	v_mul_f64 v[175:176], v[90:91], v[42:43]
	s_waitcnt lgkmcnt(11)
	v_mul_f64 v[177:178], v[94:95], v[58:59]
	v_mul_f64 v[58:59], v[92:93], v[58:59]
	s_waitcnt vmcnt(14) lgkmcnt(10)
	v_mul_f64 v[179:180], v[98:99], v[54:55]
	v_mul_f64 v[42:43], v[88:89], v[42:43]
	;; [unrolled: 1-line block ×3, first 2 shown]
	s_waitcnt lgkmcnt(8)
	v_mul_f64 v[183:184], v[106:107], v[46:47]
	v_mul_f64 v[46:47], v[104:105], v[46:47]
	s_waitcnt vmcnt(13) lgkmcnt(6)
	v_mul_f64 v[185:186], v[114:115], v[78:79]
	v_mul_f64 v[187:188], v[112:113], v[78:79]
	s_waitcnt vmcnt(12) lgkmcnt(4)
	v_mul_f64 v[189:190], v[136:137], v[70:71]
	v_mul_f64 v[70:71], v[134:135], v[70:71]
	v_fma_f64 v[146:147], v[80:81], v[32:33], v[146:147]
	v_fma_f64 v[191:192], v[82:83], v[32:33], -v[34:35]
	v_fma_f64 v[193:194], v[84:85], v[28:29], v[171:172]
	v_fma_f64 v[195:196], v[86:87], v[28:29], -v[173:174]
	s_waitcnt vmcnt(11)
	v_mul_f64 v[28:29], v[140:141], v[74:75]
	v_mul_f64 v[34:35], v[138:139], v[74:75]
	v_fma_f64 v[74:75], v[88:89], v[40:41], v[175:176]
	s_waitcnt vmcnt(9) lgkmcnt(3)
	v_mul_f64 v[175:176], v[144:145], v[62:63]
	v_mul_f64 v[62:63], v[142:143], v[62:63]
	ds_load_b128 v[30:33], v148 offset:33696
	ds_load_b128 v[78:81], v148 offset:34992
	;; [unrolled: 1-line block ×4, first 2 shown]
	v_fma_f64 v[92:93], v[92:93], v[56:57], v[177:178]
	v_fma_f64 v[94:95], v[94:95], v[56:57], -v[58:59]
	s_waitcnt vmcnt(8) lgkmcnt(5)
	v_mul_f64 v[58:59], v[165:166], v[66:67]
	v_mul_f64 v[66:67], v[163:164], v[66:67]
	v_fma_f64 v[96:97], v[96:97], v[52:53], v[179:180]
	v_mul_f64 v[177:178], v[161:162], v[50:51]
	v_mul_f64 v[179:180], v[159:160], v[50:51]
	v_fma_f64 v[90:91], v[90:91], v[40:41], -v[42:43]
	ds_load_b128 v[40:43], v148 offset:36288
	ds_load_b128 v[54:57], v148 offset:37584
	v_fma_f64 v[98:99], v[98:99], v[52:53], -v[181:182]
	v_fma_f64 v[104:105], v[104:105], v[44:45], v[183:184]
	v_fma_f64 v[106:107], v[106:107], v[44:45], -v[46:47]
	ds_load_b128 v[86:89], v157
	s_waitcnt vmcnt(7) lgkmcnt(7)
	v_mul_f64 v[181:182], v[169:170], v[38:39]
	v_mul_f64 v[38:39], v[167:168], v[38:39]
	s_waitcnt vmcnt(6) lgkmcnt(6)
	v_mul_f64 v[183:184], v[32:33], v[2:3]
	v_mul_f64 v[2:3], v[30:31], v[2:3]
	v_fma_f64 v[112:113], v[112:113], v[76:77], v[185:186]
	v_fma_f64 v[76:77], v[114:115], v[76:77], -v[187:188]
	v_fma_f64 v[134:135], v[134:135], v[68:69], v[189:190]
	v_fma_f64 v[136:137], v[136:137], v[68:69], -v[70:71]
	s_waitcnt vmcnt(5) lgkmcnt(4)
	v_mul_f64 v[114:115], v[84:85], v[10:11]
	v_mul_f64 v[10:11], v[82:83], v[10:11]
	s_waitcnt vmcnt(4)
	v_mul_f64 v[185:186], v[80:81], v[6:7]
	v_mul_f64 v[6:7], v[78:79], v[6:7]
	v_fma_f64 v[138:139], v[138:139], v[72:73], v[28:29]
	v_fma_f64 v[140:141], v[140:141], v[72:73], -v[34:35]
	v_fma_f64 v[142:143], v[142:143], v[60:61], v[175:176]
	v_fma_f64 v[144:145], v[144:145], v[60:61], -v[62:63]
	s_waitcnt vmcnt(3) lgkmcnt(3)
	v_mul_f64 v[187:188], v[173:174], v[18:19]
	v_mul_f64 v[18:19], v[171:172], v[18:19]
	s_waitcnt vmcnt(2) lgkmcnt(2)
	v_mul_f64 v[189:190], v[42:43], v[14:15]
	v_mul_f64 v[14:15], v[40:41], v[14:15]
	s_waitcnt vmcnt(1)
	v_mul_f64 v[197:198], v[110:111], v[22:23]
	v_mul_f64 v[22:23], v[108:109], v[22:23]
	s_waitcnt vmcnt(0) lgkmcnt(1)
	v_mul_f64 v[199:200], v[56:57], v[26:27]
	v_mul_f64 v[201:202], v[54:55], v[26:27]
	v_fma_f64 v[165:166], v[165:166], v[64:65], -v[66:67]
	v_fma_f64 v[159:160], v[159:160], v[48:49], v[177:178]
	v_fma_f64 v[48:49], v[161:162], v[48:49], -v[179:180]
	v_fma_f64 v[163:164], v[163:164], v[64:65], v[58:59]
	ds_load_b128 v[26:29], v158
	ds_load_b128 v[44:47], v121
	;; [unrolled: 1-line block ×6, first 2 shown]
	v_fma_f64 v[161:162], v[167:168], v[36:37], v[181:182]
	v_fma_f64 v[38:39], v[169:170], v[36:37], -v[38:39]
	v_fma_f64 v[30:31], v[30:31], v[0:1], v[183:184]
	v_fma_f64 v[32:33], v[32:33], v[0:1], -v[2:3]
	ds_load_b128 v[34:37], v152
	ds_load_b128 v[70:73], v151
	s_waitcnt lgkmcnt(8)
	v_add_f64 v[175:176], v[88:89], v[76:77]
	v_add_f64 v[177:178], v[86:87], v[112:113]
	s_waitcnt lgkmcnt(0)
	s_barrier
	buffer_gl0_inv
	v_fma_f64 v[0:1], v[82:83], v[8:9], v[114:115]
	v_fma_f64 v[2:3], v[84:85], v[8:9], -v[10:11]
	v_add_f64 v[8:9], v[146:147], v[193:194]
	v_add_f64 v[10:11], v[191:192], v[195:196]
	v_fma_f64 v[78:79], v[78:79], v[4:5], v[185:186]
	v_fma_f64 v[80:81], v[80:81], v[4:5], -v[6:7]
	v_add_f64 v[4:5], v[74:75], v[92:93]
	v_add_f64 v[6:7], v[90:91], v[94:95]
	;; [unrolled: 1-line block ×3, first 2 shown]
	v_fma_f64 v[82:83], v[171:172], v[16:17], v[187:188]
	v_fma_f64 v[16:17], v[173:174], v[16:17], -v[18:19]
	v_fma_f64 v[40:41], v[40:41], v[12:13], v[189:190]
	v_fma_f64 v[42:43], v[42:43], v[12:13], -v[14:15]
	;; [unrolled: 2-line block ×4, first 2 shown]
	v_add_f64 v[22:23], v[138:139], v[142:143]
	v_add_f64 v[24:25], v[140:141], v[144:145]
	v_add_f64 v[18:19], v[96:97], v[104:105]
	v_add_f64 v[185:186], v[165:166], v[48:49]
	v_add_f64 v[183:184], v[163:164], v[159:160]
	v_add_f64 v[12:13], v[112:113], v[134:135]
	v_add_f64 v[14:15], v[76:77], v[136:137]
	v_add_f64 v[110:111], v[102:103], v[191:192]
	v_add_f64 v[114:115], v[100:101], v[146:147]
	v_add_f64 v[179:180], v[52:53], v[140:141]
	v_add_f64 v[181:182], v[50:51], v[138:139]
	v_add_f64 v[171:172], v[46:47], v[98:99]
	v_add_f64 v[173:174], v[44:45], v[96:97]
	v_add_f64 v[197:198], v[161:162], v[30:31]
	v_add_f64 v[199:200], v[38:39], v[32:33]
	v_add_f64 v[201:202], v[64:65], v[38:39]
	v_add_f64 v[191:192], v[191:192], -v[195:196]
	v_add_f64 v[146:147], v[146:147], -v[193:194]
	v_add_f64 v[167:168], v[28:29], v[90:91]
	v_add_f64 v[169:170], v[26:27], v[74:75]
	;; [unrolled: 1-line block ×3, first 2 shown]
	v_add_f64 v[90:91], v[90:91], -v[94:95]
	v_add_f64 v[74:75], v[74:75], -v[92:93]
	v_fma_f64 v[100:101], v[8:9], -0.5, v[100:101]
	v_fma_f64 v[102:103], v[10:11], -0.5, v[102:103]
	v_add_f64 v[8:9], v[0:1], v[78:79]
	v_add_f64 v[10:11], v[2:3], v[80:81]
	v_fma_f64 v[205:206], v[4:5], -0.5, v[26:27]
	v_fma_f64 v[207:208], v[6:7], -0.5, v[28:29]
	;; [unrolled: 1-line block ×3, first 2 shown]
	v_add_f64 v[46:47], v[34:35], v[82:83]
	v_add_f64 v[189:190], v[58:59], v[163:164]
	;; [unrolled: 1-line block ×4, first 2 shown]
	v_add_f64 v[98:99], v[98:99], -v[106:107]
	v_add_f64 v[96:97], v[96:97], -v[104:105]
	;; [unrolled: 1-line block ×4, first 2 shown]
	v_fma_f64 v[213:214], v[22:23], -0.5, v[50:51]
	v_fma_f64 v[215:216], v[24:25], -0.5, v[52:53]
	v_add_f64 v[50:51], v[108:109], v[54:55]
	v_add_f64 v[52:53], v[20:21], v[56:57]
	v_fma_f64 v[211:212], v[18:19], -0.5, v[44:45]
	v_add_f64 v[44:45], v[36:37], v[16:17]
	v_fma_f64 v[185:186], v[185:186], -0.5, v[60:61]
	;; [unrolled: 2-line block ×4, first 2 shown]
	v_fma_f64 v[88:89], v[14:15], -0.5, v[88:89]
	v_add_f64 v[140:141], v[140:141], -v[144:145]
	v_add_f64 v[138:139], v[138:139], -v[142:143]
	v_add_f64 v[203:204], v[62:63], v[161:162]
	v_add_f64 v[28:29], v[68:69], v[2:3]
	;; [unrolled: 1-line block ×3, first 2 shown]
	v_add_f64 v[165:166], v[165:166], -v[48:49]
	v_add_f64 v[163:164], v[163:164], -v[159:160]
	;; [unrolled: 1-line block ×5, first 2 shown]
	v_fma_f64 v[108:109], v[197:198], -0.5, v[62:63]
	v_fma_f64 v[197:198], v[199:200], -0.5, v[64:65]
	v_add_f64 v[219:220], v[2:3], -v[80:81]
	v_add_f64 v[221:222], v[0:1], -v[78:79]
	v_fma_f64 v[199:200], v[8:9], -0.5, v[66:67]
	v_fma_f64 v[231:232], v[10:11], -0.5, v[68:69]
	v_add_f64 v[223:224], v[16:17], -v[42:43]
	v_add_f64 v[225:226], v[82:83], -v[40:41]
	;; [unrolled: 1-line block ×3, first 2 shown]
	v_add_f64 v[0:1], v[114:115], v[193:194]
	v_fma_f64 v[233:234], v[4:5], -0.5, v[34:35]
	v_fma_f64 v[235:236], v[6:7], -0.5, v[36:37]
	v_add_f64 v[14:15], v[175:176], v[136:137]
	v_add_f64 v[2:3], v[110:111], v[195:196]
	;; [unrolled: 1-line block ×4, first 2 shown]
	v_fma_f64 v[40:41], v[191:192], s[4:5], v[100:101]
	v_fma_f64 v[46:47], v[146:147], s[4:5], v[102:103]
	v_fma_f64 v[114:115], v[50:51], -0.5, v[70:71]
	v_fma_f64 v[136:137], v[52:53], -0.5, v[72:73]
	v_add_f64 v[6:7], v[167:168], v[94:95]
	v_add_f64 v[34:35], v[44:45], v[42:43]
	v_fma_f64 v[42:43], v[146:147], s[10:11], v[102:103]
	v_fma_f64 v[44:45], v[191:192], s[10:11], v[100:101]
	v_add_f64 v[4:5], v[169:170], v[92:93]
	v_add_f64 v[22:23], v[187:188], v[48:49]
	v_fma_f64 v[48:49], v[90:91], s[4:5], v[205:206]
	v_fma_f64 v[50:51], v[74:75], s[10:11], v[207:208]
	v_add_f64 v[36:37], v[60:61], v[54:55]
	v_fma_f64 v[52:53], v[90:91], s[10:11], v[205:206]
	v_fma_f64 v[54:55], v[74:75], s[4:5], v[207:208]
	v_add_f64 v[10:11], v[171:172], v[106:107]
	v_add_f64 v[8:9], v[173:174], v[104:105]
	;; [unrolled: 1-line block ×3, first 2 shown]
	v_fma_f64 v[56:57], v[98:99], s[4:5], v[211:212]
	v_fma_f64 v[58:59], v[96:97], s[10:11], v[84:85]
	;; [unrolled: 1-line block ×4, first 2 shown]
	v_add_f64 v[12:13], v[177:178], v[134:135]
	v_fma_f64 v[64:65], v[76:77], s[4:5], v[86:87]
	v_fma_f64 v[66:67], v[112:113], s[10:11], v[88:89]
	;; [unrolled: 1-line block ×4, first 2 shown]
	v_add_f64 v[18:19], v[179:180], v[144:145]
	v_add_f64 v[16:17], v[181:182], v[142:143]
	v_fma_f64 v[72:73], v[140:141], s[4:5], v[213:214]
	v_fma_f64 v[74:75], v[138:139], s[10:11], v[215:216]
	v_add_f64 v[24:25], v[203:204], v[30:31]
	v_add_f64 v[30:31], v[28:29], v[80:81]
	;; [unrolled: 1-line block ×3, first 2 shown]
	v_fma_f64 v[76:77], v[140:141], s[10:11], v[213:214]
	v_fma_f64 v[78:79], v[138:139], s[4:5], v[215:216]
	v_add_f64 v[20:21], v[189:190], v[159:160]
	v_fma_f64 v[80:81], v[165:166], s[4:5], v[183:184]
	v_fma_f64 v[82:83], v[163:164], s[10:11], v[185:186]
	;; [unrolled: 1-line block ×20, first 2 shown]
	ds_store_b128 v148, v[0:3]
	ds_store_b128 v148, v[40:43] offset:12960
	ds_store_b128 v148, v[44:47] offset:25920
	ds_store_b128 v158, v[4:7]
	ds_store_b128 v158, v[48:51] offset:12960
	ds_store_b128 v158, v[52:55] offset:25920
	;; [unrolled: 3-line block ×10, first 2 shown]
	s_waitcnt lgkmcnt(0)
	s_barrier
	buffer_gl0_inv
	ds_load_b128 v[4:7], v148
	v_sub_nc_u32_e32 v10, 0, v117
	s_addc_u32 s4, s9, 0
	s_mov_b32 s5, exec_lo
                                        ; implicit-def: $vgpr2_vgpr3
                                        ; implicit-def: $vgpr8_vgpr9
	v_cmpx_ne_u32_e32 0, v116
	s_xor_b32 s5, exec_lo, s5
	s_cbranch_execz .LBB0_15
; %bb.14:
	v_mov_b32_e32 v117, v133
	s_delay_alu instid0(VALU_DEP_1) | instskip(NEXT) | instid1(VALU_DEP_1)
	v_lshlrev_b64 v[0:1], 4, v[116:117]
	v_add_co_u32 v0, s0, s1, v0
	s_delay_alu instid0(VALU_DEP_1)
	v_add_co_ci_u32_e64 v1, s0, s4, v1, s0
	global_load_b128 v[11:14], v[0:1], off
	ds_load_b128 v[0:3], v10 offset:38880
	s_waitcnt lgkmcnt(0)
	v_add_f64 v[8:9], v[4:5], -v[0:1]
	v_add_f64 v[15:16], v[6:7], v[2:3]
	v_add_f64 v[2:3], v[6:7], -v[2:3]
	v_add_f64 v[0:1], v[4:5], v[0:1]
	s_delay_alu instid0(VALU_DEP_4) | instskip(NEXT) | instid1(VALU_DEP_4)
	v_mul_f64 v[6:7], v[8:9], 0.5
	v_mul_f64 v[4:5], v[15:16], 0.5
	s_delay_alu instid0(VALU_DEP_4) | instskip(SKIP_1) | instid1(VALU_DEP_3)
	v_mul_f64 v[2:3], v[2:3], 0.5
	s_waitcnt vmcnt(0)
	v_mul_f64 v[8:9], v[6:7], v[13:14]
	s_delay_alu instid0(VALU_DEP_2) | instskip(SKIP_1) | instid1(VALU_DEP_3)
	v_fma_f64 v[15:16], v[4:5], v[13:14], v[2:3]
	v_fma_f64 v[2:3], v[4:5], v[13:14], -v[2:3]
	v_fma_f64 v[17:18], v[0:1], 0.5, v[8:9]
	v_fma_f64 v[0:1], v[0:1], 0.5, -v[8:9]
	s_delay_alu instid0(VALU_DEP_4) | instskip(NEXT) | instid1(VALU_DEP_4)
	v_fma_f64 v[8:9], -v[11:12], v[6:7], v[15:16]
	v_fma_f64 v[2:3], -v[11:12], v[6:7], v[2:3]
	s_delay_alu instid0(VALU_DEP_4) | instskip(NEXT) | instid1(VALU_DEP_4)
	v_fma_f64 v[13:14], v[4:5], v[11:12], v[17:18]
	v_fma_f64 v[0:1], -v[4:5], v[11:12], v[0:1]
                                        ; implicit-def: $vgpr4_vgpr5
	ds_store_b64 v148, v[13:14]
.LBB0_15:
	s_or_saveexec_b32 s0, s5
	v_mul_i32_i24_e32 v12, 0xffffff70, v120
	v_mul_i32_i24_e32 v11, 0xffffff70, v131
	s_xor_b32 exec_lo, exec_lo, s0
	s_cbranch_execz .LBB0_17
; %bb.16:
	s_waitcnt lgkmcnt(0)
	v_add_f64 v[13:14], v[4:5], v[6:7]
	v_add_f64 v[0:1], v[4:5], -v[6:7]
	v_mov_b32_e32 v6, 0
	v_mov_b32_e32 v8, 0
	;; [unrolled: 1-line block ×3, first 2 shown]
	s_delay_alu instid0(VALU_DEP_2)
	v_mov_b32_e32 v2, v8
	ds_load_b64 v[4:5], v6 offset:19448
	v_mov_b32_e32 v3, v9
	s_waitcnt lgkmcnt(0)
	v_xor_b32_e32 v5, 0x80000000, v5
	ds_store_b64 v148, v[13:14]
	ds_store_b64 v6, v[4:5] offset:19448
.LBB0_17:
	s_or_b32 exec_lo, exec_lo, s0
	v_dual_mov_b32 v121, 0 :: v_dual_add_nc_u32 v12, v150, v12
	s_waitcnt lgkmcnt(0)
	s_delay_alu instid0(VALU_DEP_1) | instskip(SKIP_2) | instid1(VALU_DEP_2)
	v_lshlrev_b64 v[4:5], 4, v[120:121]
	v_mov_b32_e32 v132, v121
	v_add_nc_u32_e32 v120, 0x32a, v116
	v_lshlrev_b64 v[13:14], 4, v[131:132]
	s_delay_alu instid0(VALU_DEP_4) | instskip(NEXT) | instid1(VALU_DEP_1)
	v_add_co_u32 v4, s0, s1, v4
	v_add_co_ci_u32_e64 v5, s0, s4, v5, s0
	v_mov_b32_e32 v131, v121
	s_delay_alu instid0(VALU_DEP_4)
	v_add_co_u32 v13, s0, s1, v13
	global_load_b128 v[4:7], v[4:5], off
	v_add_co_ci_u32_e64 v14, s0, s4, v14, s0
	global_load_b128 v[13:16], v[13:14], off
	ds_store_b64 v148, v[8:9] offset:8
	ds_store_b128 v10, v[0:3] offset:38880
	ds_load_b128 v[0:3], v12
	ds_load_b128 v[17:20], v10 offset:37584
	s_waitcnt lgkmcnt(0)
	v_add_f64 v[8:9], v[0:1], -v[17:18]
	v_add_f64 v[21:22], v[2:3], v[19:20]
	v_add_f64 v[2:3], v[2:3], -v[19:20]
	v_add_f64 v[0:1], v[0:1], v[17:18]
	s_delay_alu instid0(VALU_DEP_4) | instskip(NEXT) | instid1(VALU_DEP_4)
	v_mul_f64 v[8:9], v[8:9], 0.5
	v_mul_f64 v[19:20], v[21:22], 0.5
	s_delay_alu instid0(VALU_DEP_4) | instskip(SKIP_1) | instid1(VALU_DEP_3)
	v_mul_f64 v[2:3], v[2:3], 0.5
	s_waitcnt vmcnt(1)
	v_mul_f64 v[17:18], v[8:9], v[6:7]
	s_delay_alu instid0(VALU_DEP_2) | instskip(SKIP_1) | instid1(VALU_DEP_3)
	v_fma_f64 v[21:22], v[19:20], v[6:7], v[2:3]
	v_fma_f64 v[6:7], v[19:20], v[6:7], -v[2:3]
	v_fma_f64 v[23:24], v[0:1], 0.5, v[17:18]
	v_fma_f64 v[17:18], v[0:1], 0.5, -v[17:18]
	s_delay_alu instid0(VALU_DEP_4) | instskip(NEXT) | instid1(VALU_DEP_4)
	v_fma_f64 v[2:3], -v[4:5], v[8:9], v[21:22]
	v_fma_f64 v[6:7], -v[4:5], v[8:9], v[6:7]
	v_lshlrev_b64 v[8:9], 4, v[130:131]
	v_mov_b32_e32 v130, v121
	s_delay_alu instid0(VALU_DEP_2) | instskip(NEXT) | instid1(VALU_DEP_1)
	v_add_co_u32 v8, s0, s1, v8
	v_add_co_ci_u32_e64 v9, s0, s4, v9, s0
	v_fma_f64 v[0:1], v[19:20], v[4:5], v[23:24]
	v_fma_f64 v[4:5], -v[19:20], v[4:5], v[17:18]
	global_load_b128 v[17:20], v[8:9], off
	v_add_nc_u32_e32 v23, v149, v11
	ds_store_b128 v12, v[0:3]
	ds_store_b128 v10, v[4:7] offset:37584
	ds_load_b128 v[0:3], v23
	ds_load_b128 v[4:7], v10 offset:36288
	s_waitcnt lgkmcnt(0)
	v_add_f64 v[8:9], v[0:1], -v[4:5]
	v_add_f64 v[11:12], v[2:3], v[6:7]
	v_add_f64 v[2:3], v[2:3], -v[6:7]
	v_add_f64 v[0:1], v[0:1], v[4:5]
	s_delay_alu instid0(VALU_DEP_4) | instskip(NEXT) | instid1(VALU_DEP_4)
	v_mul_f64 v[6:7], v[8:9], 0.5
	v_mul_f64 v[8:9], v[11:12], 0.5
	s_delay_alu instid0(VALU_DEP_4) | instskip(SKIP_1) | instid1(VALU_DEP_3)
	v_mul_f64 v[2:3], v[2:3], 0.5
	s_waitcnt vmcnt(1)
	v_mul_f64 v[4:5], v[6:7], v[15:16]
	s_delay_alu instid0(VALU_DEP_2) | instskip(SKIP_1) | instid1(VALU_DEP_3)
	v_fma_f64 v[11:12], v[8:9], v[15:16], v[2:3]
	v_fma_f64 v[15:16], v[8:9], v[15:16], -v[2:3]
	v_fma_f64 v[21:22], v[0:1], 0.5, v[4:5]
	v_fma_f64 v[4:5], v[0:1], 0.5, -v[4:5]
	s_delay_alu instid0(VALU_DEP_4) | instskip(NEXT) | instid1(VALU_DEP_4)
	v_fma_f64 v[2:3], -v[13:14], v[6:7], v[11:12]
	v_fma_f64 v[6:7], -v[13:14], v[6:7], v[15:16]
	s_delay_alu instid0(VALU_DEP_4) | instskip(NEXT) | instid1(VALU_DEP_4)
	v_fma_f64 v[0:1], v[8:9], v[13:14], v[21:22]
	v_fma_f64 v[4:5], -v[8:9], v[13:14], v[4:5]
	v_lshlrev_b64 v[8:9], 4, v[129:130]
	v_mov_b32_e32 v129, v121
	s_delay_alu instid0(VALU_DEP_2) | instskip(NEXT) | instid1(VALU_DEP_1)
	v_add_co_u32 v8, s0, s1, v8
	v_add_co_ci_u32_e64 v9, s0, s4, v9, s0
	global_load_b128 v[11:14], v[8:9], off
	ds_store_b128 v23, v[0:3]
	ds_store_b128 v10, v[4:7] offset:36288
	ds_load_b128 v[0:3], v157
	ds_load_b128 v[4:7], v10 offset:34992
	s_waitcnt lgkmcnt(0)
	v_add_f64 v[8:9], v[0:1], -v[4:5]
	v_add_f64 v[15:16], v[2:3], v[6:7]
	v_add_f64 v[2:3], v[2:3], -v[6:7]
	v_add_f64 v[0:1], v[0:1], v[4:5]
	s_delay_alu instid0(VALU_DEP_4) | instskip(NEXT) | instid1(VALU_DEP_4)
	v_mul_f64 v[6:7], v[8:9], 0.5
	v_mul_f64 v[8:9], v[15:16], 0.5
	s_delay_alu instid0(VALU_DEP_4) | instskip(SKIP_1) | instid1(VALU_DEP_3)
	v_mul_f64 v[2:3], v[2:3], 0.5
	s_waitcnt vmcnt(1)
	v_mul_f64 v[4:5], v[6:7], v[19:20]
	s_delay_alu instid0(VALU_DEP_2) | instskip(SKIP_1) | instid1(VALU_DEP_3)
	v_fma_f64 v[15:16], v[8:9], v[19:20], v[2:3]
	v_fma_f64 v[19:20], v[8:9], v[19:20], -v[2:3]
	v_fma_f64 v[21:22], v[0:1], 0.5, v[4:5]
	v_fma_f64 v[4:5], v[0:1], 0.5, -v[4:5]
	s_delay_alu instid0(VALU_DEP_4) | instskip(NEXT) | instid1(VALU_DEP_4)
	v_fma_f64 v[2:3], -v[17:18], v[6:7], v[15:16]
	v_fma_f64 v[6:7], -v[17:18], v[6:7], v[19:20]
	s_delay_alu instid0(VALU_DEP_4) | instskip(NEXT) | instid1(VALU_DEP_4)
	v_fma_f64 v[0:1], v[8:9], v[17:18], v[21:22]
	v_fma_f64 v[4:5], -v[8:9], v[17:18], v[4:5]
	v_lshlrev_b64 v[8:9], 4, v[128:129]
	v_mov_b32_e32 v128, v121
	s_delay_alu instid0(VALU_DEP_2) | instskip(NEXT) | instid1(VALU_DEP_1)
	v_add_co_u32 v8, s0, s1, v8
	v_add_co_ci_u32_e64 v9, s0, s4, v9, s0
	global_load_b128 v[15:18], v[8:9], off
	;; [unrolled: 33-line block ×5, first 2 shown]
	ds_store_b128 v154, v[0:3]
	ds_store_b128 v10, v[4:7] offset:31104
	ds_load_b128 v[0:3], v153
	ds_load_b128 v[4:7], v10 offset:29808
	s_waitcnt lgkmcnt(0)
	v_add_f64 v[8:9], v[0:1], -v[4:5]
	v_add_f64 v[19:20], v[2:3], v[6:7]
	v_add_f64 v[2:3], v[2:3], -v[6:7]
	v_add_f64 v[0:1], v[0:1], v[4:5]
	s_delay_alu instid0(VALU_DEP_4) | instskip(NEXT) | instid1(VALU_DEP_4)
	v_mul_f64 v[6:7], v[8:9], 0.5
	v_mul_f64 v[8:9], v[19:20], 0.5
	s_delay_alu instid0(VALU_DEP_4) | instskip(SKIP_1) | instid1(VALU_DEP_3)
	v_mul_f64 v[2:3], v[2:3], 0.5
	s_waitcnt vmcnt(1)
	v_mul_f64 v[4:5], v[6:7], v[17:18]
	s_delay_alu instid0(VALU_DEP_2) | instskip(SKIP_1) | instid1(VALU_DEP_3)
	v_fma_f64 v[19:20], v[8:9], v[17:18], v[2:3]
	v_fma_f64 v[17:18], v[8:9], v[17:18], -v[2:3]
	v_fma_f64 v[21:22], v[0:1], 0.5, v[4:5]
	v_fma_f64 v[4:5], v[0:1], 0.5, -v[4:5]
	s_delay_alu instid0(VALU_DEP_4) | instskip(NEXT) | instid1(VALU_DEP_4)
	v_fma_f64 v[2:3], -v[15:16], v[6:7], v[19:20]
	v_fma_f64 v[6:7], -v[15:16], v[6:7], v[17:18]
	s_delay_alu instid0(VALU_DEP_4) | instskip(NEXT) | instid1(VALU_DEP_4)
	v_fma_f64 v[0:1], v[8:9], v[15:16], v[21:22]
	v_fma_f64 v[4:5], -v[8:9], v[15:16], v[4:5]
	v_lshlrev_b64 v[8:9], 4, v[124:125]
	s_delay_alu instid0(VALU_DEP_1) | instskip(NEXT) | instid1(VALU_DEP_1)
	v_add_co_u32 v8, s0, s1, v8
	v_add_co_ci_u32_e64 v9, s0, s4, v9, s0
	global_load_b128 v[15:18], v[8:9], off
	ds_store_b128 v153, v[0:3]
	ds_store_b128 v10, v[4:7] offset:29808
	ds_load_b128 v[0:3], v152
	ds_load_b128 v[4:7], v10 offset:28512
	s_waitcnt lgkmcnt(0)
	v_add_f64 v[8:9], v[0:1], -v[4:5]
	v_add_f64 v[19:20], v[2:3], v[6:7]
	v_add_f64 v[2:3], v[2:3], -v[6:7]
	v_add_f64 v[0:1], v[0:1], v[4:5]
	s_delay_alu instid0(VALU_DEP_4) | instskip(NEXT) | instid1(VALU_DEP_4)
	v_mul_f64 v[6:7], v[8:9], 0.5
	v_mul_f64 v[8:9], v[19:20], 0.5
	s_delay_alu instid0(VALU_DEP_4) | instskip(SKIP_1) | instid1(VALU_DEP_3)
	v_mul_f64 v[2:3], v[2:3], 0.5
	s_waitcnt vmcnt(1)
	v_mul_f64 v[4:5], v[6:7], v[13:14]
	s_delay_alu instid0(VALU_DEP_2) | instskip(SKIP_1) | instid1(VALU_DEP_3)
	v_fma_f64 v[19:20], v[8:9], v[13:14], v[2:3]
	v_fma_f64 v[13:14], v[8:9], v[13:14], -v[2:3]
	v_fma_f64 v[21:22], v[0:1], 0.5, v[4:5]
	v_fma_f64 v[4:5], v[0:1], 0.5, -v[4:5]
	s_delay_alu instid0(VALU_DEP_4) | instskip(NEXT) | instid1(VALU_DEP_4)
	v_fma_f64 v[2:3], -v[11:12], v[6:7], v[19:20]
	v_fma_f64 v[6:7], -v[11:12], v[6:7], v[13:14]
	s_delay_alu instid0(VALU_DEP_4) | instskip(NEXT) | instid1(VALU_DEP_4)
	v_fma_f64 v[0:1], v[8:9], v[11:12], v[21:22]
	v_fma_f64 v[4:5], -v[8:9], v[11:12], v[4:5]
	v_lshlrev_b64 v[8:9], 4, v[120:121]
	v_add_nc_u32_e32 v120, 0x37b, v116
	s_delay_alu instid0(VALU_DEP_2) | instskip(NEXT) | instid1(VALU_DEP_1)
	v_add_co_u32 v8, s0, s1, v8
	v_add_co_ci_u32_e64 v9, s0, s4, v9, s0
	global_load_b128 v[11:14], v[8:9], off
	ds_store_b128 v152, v[0:3]
	ds_store_b128 v10, v[4:7] offset:28512
	ds_load_b128 v[0:3], v151
	ds_load_b128 v[4:7], v10 offset:27216
	s_waitcnt lgkmcnt(0)
	v_add_f64 v[8:9], v[0:1], -v[4:5]
	v_add_f64 v[19:20], v[2:3], v[6:7]
	v_add_f64 v[2:3], v[2:3], -v[6:7]
	v_add_f64 v[0:1], v[0:1], v[4:5]
	s_delay_alu instid0(VALU_DEP_4) | instskip(NEXT) | instid1(VALU_DEP_4)
	v_mul_f64 v[6:7], v[8:9], 0.5
	v_mul_f64 v[8:9], v[19:20], 0.5
	s_delay_alu instid0(VALU_DEP_4) | instskip(SKIP_1) | instid1(VALU_DEP_3)
	v_mul_f64 v[2:3], v[2:3], 0.5
	s_waitcnt vmcnt(1)
	v_mul_f64 v[4:5], v[6:7], v[17:18]
	s_delay_alu instid0(VALU_DEP_2) | instskip(SKIP_1) | instid1(VALU_DEP_3)
	v_fma_f64 v[19:20], v[8:9], v[17:18], v[2:3]
	v_fma_f64 v[17:18], v[8:9], v[17:18], -v[2:3]
	v_fma_f64 v[21:22], v[0:1], 0.5, v[4:5]
	v_fma_f64 v[4:5], v[0:1], 0.5, -v[4:5]
	s_delay_alu instid0(VALU_DEP_4) | instskip(NEXT) | instid1(VALU_DEP_4)
	v_fma_f64 v[2:3], -v[15:16], v[6:7], v[19:20]
	v_fma_f64 v[6:7], -v[15:16], v[6:7], v[17:18]
	s_delay_alu instid0(VALU_DEP_4) | instskip(NEXT) | instid1(VALU_DEP_4)
	v_fma_f64 v[0:1], v[8:9], v[15:16], v[21:22]
	v_fma_f64 v[4:5], -v[8:9], v[15:16], v[4:5]
	v_lshlrev_b64 v[8:9], 4, v[120:121]
	v_add_nc_u32_e32 v120, 0x3cc, v116
	s_delay_alu instid0(VALU_DEP_2) | instskip(NEXT) | instid1(VALU_DEP_1)
	v_add_co_u32 v8, s0, s1, v8
	v_add_co_ci_u32_e64 v9, s0, s4, v9, s0
	global_load_b128 v[15:18], v[8:9], off
	ds_store_b128 v151, v[0:3]
	ds_store_b128 v10, v[4:7] offset:27216
	ds_load_b128 v[0:3], v148 offset:12960
	ds_load_b128 v[4:7], v10 offset:25920
	s_waitcnt lgkmcnt(0)
	v_add_f64 v[8:9], v[0:1], -v[4:5]
	v_add_f64 v[19:20], v[2:3], v[6:7]
	v_add_f64 v[2:3], v[2:3], -v[6:7]
	v_add_f64 v[0:1], v[0:1], v[4:5]
	s_delay_alu instid0(VALU_DEP_4) | instskip(NEXT) | instid1(VALU_DEP_4)
	v_mul_f64 v[6:7], v[8:9], 0.5
	v_mul_f64 v[8:9], v[19:20], 0.5
	s_delay_alu instid0(VALU_DEP_4) | instskip(SKIP_1) | instid1(VALU_DEP_3)
	v_mul_f64 v[2:3], v[2:3], 0.5
	s_waitcnt vmcnt(1)
	v_mul_f64 v[4:5], v[6:7], v[13:14]
	s_delay_alu instid0(VALU_DEP_2) | instskip(SKIP_1) | instid1(VALU_DEP_3)
	v_fma_f64 v[19:20], v[8:9], v[13:14], v[2:3]
	v_fma_f64 v[13:14], v[8:9], v[13:14], -v[2:3]
	v_fma_f64 v[21:22], v[0:1], 0.5, v[4:5]
	v_fma_f64 v[4:5], v[0:1], 0.5, -v[4:5]
	s_delay_alu instid0(VALU_DEP_4) | instskip(NEXT) | instid1(VALU_DEP_4)
	v_fma_f64 v[2:3], -v[11:12], v[6:7], v[19:20]
	v_fma_f64 v[6:7], -v[11:12], v[6:7], v[13:14]
	s_delay_alu instid0(VALU_DEP_4) | instskip(NEXT) | instid1(VALU_DEP_4)
	v_fma_f64 v[0:1], v[8:9], v[11:12], v[21:22]
	v_fma_f64 v[4:5], -v[8:9], v[11:12], v[4:5]
	v_lshlrev_b64 v[8:9], 4, v[120:121]
	v_add_nc_u32_e32 v120, 0x41d, v116
	s_delay_alu instid0(VALU_DEP_2) | instskip(NEXT) | instid1(VALU_DEP_1)
	v_add_co_u32 v8, s0, s1, v8
	v_add_co_ci_u32_e64 v9, s0, s4, v9, s0
	global_load_b128 v[11:14], v[8:9], off
	ds_store_b128 v148, v[0:3] offset:12960
	ds_store_b128 v10, v[4:7] offset:25920
	ds_load_b128 v[0:3], v148 offset:14256
	ds_load_b128 v[4:7], v10 offset:24624
	s_waitcnt lgkmcnt(0)
	v_add_f64 v[8:9], v[0:1], -v[4:5]
	v_add_f64 v[19:20], v[2:3], v[6:7]
	v_add_f64 v[2:3], v[2:3], -v[6:7]
	v_add_f64 v[0:1], v[0:1], v[4:5]
	s_delay_alu instid0(VALU_DEP_4) | instskip(NEXT) | instid1(VALU_DEP_4)
	v_mul_f64 v[6:7], v[8:9], 0.5
	v_mul_f64 v[8:9], v[19:20], 0.5
	s_delay_alu instid0(VALU_DEP_4) | instskip(SKIP_1) | instid1(VALU_DEP_3)
	v_mul_f64 v[2:3], v[2:3], 0.5
	s_waitcnt vmcnt(1)
	v_mul_f64 v[4:5], v[6:7], v[17:18]
	s_delay_alu instid0(VALU_DEP_2) | instskip(SKIP_1) | instid1(VALU_DEP_3)
	v_fma_f64 v[19:20], v[8:9], v[17:18], v[2:3]
	v_fma_f64 v[17:18], v[8:9], v[17:18], -v[2:3]
	v_fma_f64 v[21:22], v[0:1], 0.5, v[4:5]
	v_fma_f64 v[4:5], v[0:1], 0.5, -v[4:5]
	s_delay_alu instid0(VALU_DEP_4) | instskip(NEXT) | instid1(VALU_DEP_4)
	v_fma_f64 v[2:3], -v[15:16], v[6:7], v[19:20]
	v_fma_f64 v[6:7], -v[15:16], v[6:7], v[17:18]
	s_delay_alu instid0(VALU_DEP_4) | instskip(NEXT) | instid1(VALU_DEP_4)
	v_fma_f64 v[0:1], v[8:9], v[15:16], v[21:22]
	v_fma_f64 v[4:5], -v[8:9], v[15:16], v[4:5]
	v_lshlrev_b64 v[8:9], 4, v[120:121]
	v_add_nc_u32_e32 v120, 0x46e, v116
	s_delay_alu instid0(VALU_DEP_2) | instskip(NEXT) | instid1(VALU_DEP_1)
	v_add_co_u32 v8, s0, s1, v8
	v_add_co_ci_u32_e64 v9, s0, s4, v9, s0
	global_load_b128 v[15:18], v[8:9], off
	ds_store_b128 v148, v[0:3] offset:14256
	ds_store_b128 v10, v[4:7] offset:24624
	ds_load_b128 v[0:3], v148 offset:15552
	ds_load_b128 v[4:7], v10 offset:23328
	s_waitcnt lgkmcnt(0)
	v_add_f64 v[8:9], v[0:1], -v[4:5]
	v_add_f64 v[19:20], v[2:3], v[6:7]
	v_add_f64 v[2:3], v[2:3], -v[6:7]
	v_add_f64 v[0:1], v[0:1], v[4:5]
	s_delay_alu instid0(VALU_DEP_4) | instskip(NEXT) | instid1(VALU_DEP_4)
	v_mul_f64 v[6:7], v[8:9], 0.5
	v_mul_f64 v[8:9], v[19:20], 0.5
	s_delay_alu instid0(VALU_DEP_4) | instskip(SKIP_1) | instid1(VALU_DEP_3)
	v_mul_f64 v[2:3], v[2:3], 0.5
	s_waitcnt vmcnt(1)
	v_mul_f64 v[4:5], v[6:7], v[13:14]
	s_delay_alu instid0(VALU_DEP_2) | instskip(SKIP_1) | instid1(VALU_DEP_3)
	v_fma_f64 v[19:20], v[8:9], v[13:14], v[2:3]
	v_fma_f64 v[13:14], v[8:9], v[13:14], -v[2:3]
	v_fma_f64 v[21:22], v[0:1], 0.5, v[4:5]
	v_fma_f64 v[4:5], v[0:1], 0.5, -v[4:5]
	s_delay_alu instid0(VALU_DEP_4) | instskip(NEXT) | instid1(VALU_DEP_4)
	v_fma_f64 v[2:3], -v[11:12], v[6:7], v[19:20]
	v_fma_f64 v[6:7], -v[11:12], v[6:7], v[13:14]
	s_delay_alu instid0(VALU_DEP_4) | instskip(NEXT) | instid1(VALU_DEP_4)
	v_fma_f64 v[0:1], v[8:9], v[11:12], v[21:22]
	v_fma_f64 v[4:5], -v[8:9], v[11:12], v[4:5]
	v_lshlrev_b64 v[8:9], 4, v[120:121]
	s_delay_alu instid0(VALU_DEP_1) | instskip(NEXT) | instid1(VALU_DEP_1)
	v_add_co_u32 v8, s0, s1, v8
	v_add_co_ci_u32_e64 v9, s0, s4, v9, s0
	global_load_b128 v[11:14], v[8:9], off
	ds_store_b128 v148, v[0:3] offset:15552
	ds_store_b128 v10, v[4:7] offset:23328
	ds_load_b128 v[0:3], v148 offset:16848
	ds_load_b128 v[4:7], v10 offset:22032
	s_waitcnt lgkmcnt(0)
	v_add_f64 v[8:9], v[0:1], -v[4:5]
	v_add_f64 v[19:20], v[2:3], v[6:7]
	v_add_f64 v[2:3], v[2:3], -v[6:7]
	v_add_f64 v[0:1], v[0:1], v[4:5]
	s_delay_alu instid0(VALU_DEP_4) | instskip(NEXT) | instid1(VALU_DEP_4)
	v_mul_f64 v[6:7], v[8:9], 0.5
	v_mul_f64 v[8:9], v[19:20], 0.5
	s_delay_alu instid0(VALU_DEP_4) | instskip(SKIP_1) | instid1(VALU_DEP_3)
	v_mul_f64 v[2:3], v[2:3], 0.5
	s_waitcnt vmcnt(1)
	v_mul_f64 v[4:5], v[6:7], v[17:18]
	s_delay_alu instid0(VALU_DEP_2) | instskip(SKIP_1) | instid1(VALU_DEP_3)
	v_fma_f64 v[19:20], v[8:9], v[17:18], v[2:3]
	v_fma_f64 v[17:18], v[8:9], v[17:18], -v[2:3]
	v_fma_f64 v[21:22], v[0:1], 0.5, v[4:5]
	v_fma_f64 v[4:5], v[0:1], 0.5, -v[4:5]
	s_delay_alu instid0(VALU_DEP_4) | instskip(NEXT) | instid1(VALU_DEP_4)
	v_fma_f64 v[2:3], -v[15:16], v[6:7], v[19:20]
	v_fma_f64 v[6:7], -v[15:16], v[6:7], v[17:18]
	s_delay_alu instid0(VALU_DEP_4) | instskip(NEXT) | instid1(VALU_DEP_4)
	v_fma_f64 v[0:1], v[8:9], v[15:16], v[21:22]
	v_fma_f64 v[4:5], -v[8:9], v[15:16], v[4:5]
	ds_store_b128 v148, v[0:3] offset:16848
	ds_store_b128 v10, v[4:7] offset:22032
	ds_load_b128 v[0:3], v148 offset:18144
	ds_load_b128 v[4:7], v10 offset:20736
	s_waitcnt lgkmcnt(0)
	v_add_f64 v[8:9], v[0:1], -v[4:5]
	v_add_f64 v[15:16], v[2:3], v[6:7]
	v_add_f64 v[2:3], v[2:3], -v[6:7]
	v_add_f64 v[0:1], v[0:1], v[4:5]
	s_delay_alu instid0(VALU_DEP_4) | instskip(NEXT) | instid1(VALU_DEP_4)
	v_mul_f64 v[6:7], v[8:9], 0.5
	v_mul_f64 v[8:9], v[15:16], 0.5
	s_delay_alu instid0(VALU_DEP_4) | instskip(SKIP_1) | instid1(VALU_DEP_3)
	v_mul_f64 v[2:3], v[2:3], 0.5
	s_waitcnt vmcnt(0)
	v_mul_f64 v[4:5], v[6:7], v[13:14]
	s_delay_alu instid0(VALU_DEP_2) | instskip(SKIP_1) | instid1(VALU_DEP_3)
	v_fma_f64 v[15:16], v[8:9], v[13:14], v[2:3]
	v_fma_f64 v[13:14], v[8:9], v[13:14], -v[2:3]
	v_fma_f64 v[17:18], v[0:1], 0.5, v[4:5]
	v_fma_f64 v[4:5], v[0:1], 0.5, -v[4:5]
	s_delay_alu instid0(VALU_DEP_4) | instskip(NEXT) | instid1(VALU_DEP_4)
	v_fma_f64 v[2:3], -v[11:12], v[6:7], v[15:16]
	v_fma_f64 v[6:7], -v[11:12], v[6:7], v[13:14]
	s_delay_alu instid0(VALU_DEP_4) | instskip(NEXT) | instid1(VALU_DEP_4)
	v_fma_f64 v[0:1], v[8:9], v[11:12], v[17:18]
	v_fma_f64 v[4:5], -v[8:9], v[11:12], v[4:5]
	ds_store_b128 v148, v[0:3] offset:18144
	ds_store_b128 v10, v[4:7] offset:20736
	s_waitcnt lgkmcnt(0)
	s_barrier
	buffer_gl0_inv
	s_and_saveexec_b32 s0, vcc_lo
	s_cbranch_execz .LBB0_20
; %bb.18:
	v_mul_lo_u32 v2, s3, v122
	v_mul_lo_u32 v3, s2, v123
	v_mad_u64_u32 v[0:1], null, s2, v122, 0
	v_lshl_add_u32 v28, v116, 4, 0
	v_dual_mov_b32 v117, v121 :: v_dual_add_nc_u32 v120, 0x51, v116
	v_lshlrev_b64 v[10:11], 4, v[118:119]
	s_delay_alu instid0(VALU_DEP_4)
	v_add3_u32 v1, v1, v3, v2
	ds_load_b128 v[2:5], v28
	ds_load_b128 v[6:9], v28 offset:1296
	v_lshlrev_b64 v[12:13], 4, v[116:117]
	v_lshlrev_b64 v[14:15], 4, v[120:121]
	v_add_nc_u32_e32 v120, 0xa2, v116
	v_lshlrev_b64 v[0:1], 4, v[0:1]
	s_delay_alu instid0(VALU_DEP_1) | instskip(NEXT) | instid1(VALU_DEP_2)
	v_add_co_u32 v0, vcc_lo, s6, v0
	v_add_co_ci_u32_e32 v1, vcc_lo, s7, v1, vcc_lo
	s_delay_alu instid0(VALU_DEP_2) | instskip(NEXT) | instid1(VALU_DEP_2)
	v_add_co_u32 v0, vcc_lo, v0, v10
	v_add_co_ci_u32_e32 v1, vcc_lo, v1, v11, vcc_lo
	s_delay_alu instid0(VALU_DEP_2) | instskip(NEXT) | instid1(VALU_DEP_2)
	v_add_co_u32 v10, vcc_lo, v0, v12
	v_add_co_ci_u32_e32 v11, vcc_lo, v1, v13, vcc_lo
	v_add_co_u32 v12, vcc_lo, v0, v14
	v_add_co_ci_u32_e32 v13, vcc_lo, v1, v15, vcc_lo
	v_lshlrev_b64 v[14:15], 4, v[120:121]
	v_add_nc_u32_e32 v120, 0xf3, v116
	s_waitcnt lgkmcnt(1)
	global_store_b128 v[10:11], v[2:5], off
	s_waitcnt lgkmcnt(0)
	global_store_b128 v[12:13], v[6:9], off
	ds_load_b128 v[2:5], v28 offset:2592
	ds_load_b128 v[6:9], v28 offset:3888
	v_add_co_u32 v20, vcc_lo, v0, v14
	v_lshlrev_b64 v[18:19], 4, v[120:121]
	v_add_nc_u32_e32 v120, 0x144, v116
	v_add_co_ci_u32_e32 v21, vcc_lo, v1, v15, vcc_lo
	ds_load_b128 v[10:13], v28 offset:5184
	ds_load_b128 v[14:17], v28 offset:6480
	v_lshlrev_b64 v[22:23], 4, v[120:121]
	v_add_nc_u32_e32 v120, 0x195, v116
	v_add_co_u32 v18, vcc_lo, v0, v18
	v_add_co_ci_u32_e32 v19, vcc_lo, v1, v19, vcc_lo
	s_delay_alu instid0(VALU_DEP_3) | instskip(SKIP_3) | instid1(VALU_DEP_4)
	v_lshlrev_b64 v[24:25], 4, v[120:121]
	v_add_nc_u32_e32 v120, 0x1e6, v116
	v_add_co_u32 v22, vcc_lo, v0, v22
	v_add_co_ci_u32_e32 v23, vcc_lo, v1, v23, vcc_lo
	v_add_co_u32 v24, vcc_lo, v0, v24
	s_delay_alu instid0(VALU_DEP_4)
	v_lshlrev_b64 v[26:27], 4, v[120:121]
	v_add_nc_u32_e32 v120, 0x237, v116
	v_add_co_ci_u32_e32 v25, vcc_lo, v1, v25, vcc_lo
	s_waitcnt lgkmcnt(3)
	global_store_b128 v[20:21], v[2:5], off
	s_waitcnt lgkmcnt(2)
	global_store_b128 v[18:19], v[6:9], off
	s_waitcnt lgkmcnt(1)
	global_store_b128 v[22:23], v[10:13], off
	s_waitcnt lgkmcnt(0)
	global_store_b128 v[24:25], v[14:17], off
	ds_load_b128 v[2:5], v28 offset:7776
	ds_load_b128 v[6:9], v28 offset:9072
	v_lshlrev_b64 v[18:19], 4, v[120:121]
	v_add_nc_u32_e32 v120, 0x288, v116
	ds_load_b128 v[10:13], v28 offset:10368
	ds_load_b128 v[14:17], v28 offset:11664
	v_add_co_u32 v20, vcc_lo, v0, v26
	v_add_co_ci_u32_e32 v21, vcc_lo, v1, v27, vcc_lo
	v_lshlrev_b64 v[22:23], 4, v[120:121]
	v_add_nc_u32_e32 v120, 0x2d9, v116
	v_add_co_u32 v18, vcc_lo, v0, v18
	v_add_co_ci_u32_e32 v19, vcc_lo, v1, v19, vcc_lo
	s_delay_alu instid0(VALU_DEP_3) | instskip(SKIP_3) | instid1(VALU_DEP_4)
	v_lshlrev_b64 v[24:25], 4, v[120:121]
	v_add_nc_u32_e32 v120, 0x32a, v116
	v_add_co_u32 v22, vcc_lo, v0, v22
	v_add_co_ci_u32_e32 v23, vcc_lo, v1, v23, vcc_lo
	v_add_co_u32 v24, vcc_lo, v0, v24
	s_delay_alu instid0(VALU_DEP_4)
	v_lshlrev_b64 v[26:27], 4, v[120:121]
	v_add_nc_u32_e32 v120, 0x37b, v116
	v_add_co_ci_u32_e32 v25, vcc_lo, v1, v25, vcc_lo
	s_waitcnt lgkmcnt(3)
	global_store_b128 v[20:21], v[2:5], off
	s_waitcnt lgkmcnt(2)
	global_store_b128 v[18:19], v[6:9], off
	s_waitcnt lgkmcnt(1)
	global_store_b128 v[22:23], v[10:13], off
	s_waitcnt lgkmcnt(0)
	global_store_b128 v[24:25], v[14:17], off
	ds_load_b128 v[2:5], v28 offset:12960
	ds_load_b128 v[6:9], v28 offset:14256
	v_lshlrev_b64 v[18:19], 4, v[120:121]
	v_add_nc_u32_e32 v120, 0x3cc, v116
	ds_load_b128 v[10:13], v28 offset:15552
	ds_load_b128 v[14:17], v28 offset:16848
	v_add_co_u32 v20, vcc_lo, v0, v26
	v_add_co_ci_u32_e32 v21, vcc_lo, v1, v27, vcc_lo
	;; [unrolled: 30-line block ×5, first 2 shown]
	v_lshlrev_b64 v[22:23], 4, v[120:121]
	v_add_nc_u32_e32 v120, 0x7e9, v116
	v_add_co_u32 v18, vcc_lo, v0, v18
	v_add_co_ci_u32_e32 v19, vcc_lo, v1, v19, vcc_lo
	s_delay_alu instid0(VALU_DEP_3) | instskip(SKIP_3) | instid1(VALU_DEP_3)
	v_lshlrev_b64 v[24:25], 4, v[120:121]
	v_add_nc_u32_e32 v120, 0x83a, v116
	v_add_co_u32 v22, vcc_lo, v0, v22
	v_add_co_ci_u32_e32 v23, vcc_lo, v1, v23, vcc_lo
	v_lshlrev_b64 v[26:27], 4, v[120:121]
	v_add_nc_u32_e32 v120, 0x88b, v116
	v_add_co_u32 v24, vcc_lo, v0, v24
	v_add_co_ci_u32_e32 v25, vcc_lo, v1, v25, vcc_lo
	s_waitcnt lgkmcnt(3)
	global_store_b128 v[20:21], v[2:5], off
	s_waitcnt lgkmcnt(2)
	global_store_b128 v[18:19], v[6:9], off
	;; [unrolled: 2-line block ×4, first 2 shown]
	v_lshlrev_b64 v[20:21], 4, v[120:121]
	v_add_nc_u32_e32 v120, 0x8dc, v116
	ds_load_b128 v[2:5], v28 offset:33696
	ds_load_b128 v[6:9], v28 offset:34992
	;; [unrolled: 1-line block ×4, first 2 shown]
	v_add_co_u32 v18, vcc_lo, v0, v26
	v_add_co_ci_u32_e32 v19, vcc_lo, v1, v27, vcc_lo
	v_lshlrev_b64 v[22:23], 4, v[120:121]
	v_add_nc_u32_e32 v120, 0x92d, v116
	v_add_co_u32 v20, vcc_lo, v0, v20
	v_add_co_ci_u32_e32 v21, vcc_lo, v1, v21, vcc_lo
	s_delay_alu instid0(VALU_DEP_3) | instskip(SKIP_2) | instid1(VALU_DEP_3)
	v_lshlrev_b64 v[24:25], 4, v[120:121]
	v_add_co_u32 v22, vcc_lo, v0, v22
	v_add_co_ci_u32_e32 v23, vcc_lo, v1, v23, vcc_lo
	v_add_co_u32 v24, vcc_lo, v0, v24
	s_delay_alu instid0(VALU_DEP_4)
	v_add_co_ci_u32_e32 v25, vcc_lo, v1, v25, vcc_lo
	v_cmp_eq_u32_e32 vcc_lo, 0x50, v116
	s_waitcnt lgkmcnt(3)
	global_store_b128 v[18:19], v[2:5], off
	s_waitcnt lgkmcnt(2)
	global_store_b128 v[20:21], v[6:9], off
	;; [unrolled: 2-line block ×4, first 2 shown]
	s_and_b32 exec_lo, exec_lo, vcc_lo
	s_cbranch_execz .LBB0_20
; %bb.19:
	v_mov_b32_e32 v2, 0
	v_add_co_u32 v0, vcc_lo, 0x9000, v0
	v_add_co_ci_u32_e32 v1, vcc_lo, 0, v1, vcc_lo
	ds_load_b128 v[2:5], v2 offset:38880
	s_waitcnt lgkmcnt(0)
	global_store_b128 v[0:1], v[2:5], off offset:2016
.LBB0_20:
	s_nop 0
	s_sendmsg sendmsg(MSG_DEALLOC_VGPRS)
	s_endpgm
	.section	.rodata,"a",@progbits
	.p2align	6, 0x0
	.amdhsa_kernel fft_rtc_back_len2430_factors_10_3_3_3_3_3_wgs_81_tpt_81_halfLds_dp_op_CI_CI_unitstride_sbrr_R2C_dirReg
		.amdhsa_group_segment_fixed_size 0
		.amdhsa_private_segment_fixed_size 0
		.amdhsa_kernarg_size 104
		.amdhsa_user_sgpr_count 15
		.amdhsa_user_sgpr_dispatch_ptr 0
		.amdhsa_user_sgpr_queue_ptr 0
		.amdhsa_user_sgpr_kernarg_segment_ptr 1
		.amdhsa_user_sgpr_dispatch_id 0
		.amdhsa_user_sgpr_private_segment_size 0
		.amdhsa_wavefront_size32 1
		.amdhsa_uses_dynamic_stack 0
		.amdhsa_enable_private_segment 0
		.amdhsa_system_sgpr_workgroup_id_x 1
		.amdhsa_system_sgpr_workgroup_id_y 0
		.amdhsa_system_sgpr_workgroup_id_z 0
		.amdhsa_system_sgpr_workgroup_info 0
		.amdhsa_system_vgpr_workitem_id 0
		.amdhsa_next_free_vgpr 237
		.amdhsa_next_free_sgpr 27
		.amdhsa_reserve_vcc 1
		.amdhsa_float_round_mode_32 0
		.amdhsa_float_round_mode_16_64 0
		.amdhsa_float_denorm_mode_32 3
		.amdhsa_float_denorm_mode_16_64 3
		.amdhsa_dx10_clamp 1
		.amdhsa_ieee_mode 1
		.amdhsa_fp16_overflow 0
		.amdhsa_workgroup_processor_mode 1
		.amdhsa_memory_ordered 1
		.amdhsa_forward_progress 0
		.amdhsa_shared_vgpr_count 0
		.amdhsa_exception_fp_ieee_invalid_op 0
		.amdhsa_exception_fp_denorm_src 0
		.amdhsa_exception_fp_ieee_div_zero 0
		.amdhsa_exception_fp_ieee_overflow 0
		.amdhsa_exception_fp_ieee_underflow 0
		.amdhsa_exception_fp_ieee_inexact 0
		.amdhsa_exception_int_div_zero 0
	.end_amdhsa_kernel
	.text
.Lfunc_end0:
	.size	fft_rtc_back_len2430_factors_10_3_3_3_3_3_wgs_81_tpt_81_halfLds_dp_op_CI_CI_unitstride_sbrr_R2C_dirReg, .Lfunc_end0-fft_rtc_back_len2430_factors_10_3_3_3_3_3_wgs_81_tpt_81_halfLds_dp_op_CI_CI_unitstride_sbrr_R2C_dirReg
                                        ; -- End function
	.section	.AMDGPU.csdata,"",@progbits
; Kernel info:
; codeLenInByte = 28540
; NumSgprs: 29
; NumVgprs: 237
; ScratchSize: 0
; MemoryBound: 0
; FloatMode: 240
; IeeeMode: 1
; LDSByteSize: 0 bytes/workgroup (compile time only)
; SGPRBlocks: 3
; VGPRBlocks: 29
; NumSGPRsForWavesPerEU: 29
; NumVGPRsForWavesPerEU: 237
; Occupancy: 6
; WaveLimiterHint : 1
; COMPUTE_PGM_RSRC2:SCRATCH_EN: 0
; COMPUTE_PGM_RSRC2:USER_SGPR: 15
; COMPUTE_PGM_RSRC2:TRAP_HANDLER: 0
; COMPUTE_PGM_RSRC2:TGID_X_EN: 1
; COMPUTE_PGM_RSRC2:TGID_Y_EN: 0
; COMPUTE_PGM_RSRC2:TGID_Z_EN: 0
; COMPUTE_PGM_RSRC2:TIDIG_COMP_CNT: 0
	.text
	.p2alignl 7, 3214868480
	.fill 96, 4, 3214868480
	.type	__hip_cuid_25ed473952f2e9df,@object ; @__hip_cuid_25ed473952f2e9df
	.section	.bss,"aw",@nobits
	.globl	__hip_cuid_25ed473952f2e9df
__hip_cuid_25ed473952f2e9df:
	.byte	0                               ; 0x0
	.size	__hip_cuid_25ed473952f2e9df, 1

	.ident	"AMD clang version 19.0.0git (https://github.com/RadeonOpenCompute/llvm-project roc-6.4.0 25133 c7fe45cf4b819c5991fe208aaa96edf142730f1d)"
	.section	".note.GNU-stack","",@progbits
	.addrsig
	.addrsig_sym __hip_cuid_25ed473952f2e9df
	.amdgpu_metadata
---
amdhsa.kernels:
  - .args:
      - .actual_access:  read_only
        .address_space:  global
        .offset:         0
        .size:           8
        .value_kind:     global_buffer
      - .offset:         8
        .size:           8
        .value_kind:     by_value
      - .actual_access:  read_only
        .address_space:  global
        .offset:         16
        .size:           8
        .value_kind:     global_buffer
      - .actual_access:  read_only
        .address_space:  global
        .offset:         24
        .size:           8
        .value_kind:     global_buffer
      - .actual_access:  read_only
        .address_space:  global
        .offset:         32
        .size:           8
        .value_kind:     global_buffer
      - .offset:         40
        .size:           8
        .value_kind:     by_value
      - .actual_access:  read_only
        .address_space:  global
        .offset:         48
        .size:           8
        .value_kind:     global_buffer
      - .actual_access:  read_only
        .address_space:  global
        .offset:         56
        .size:           8
        .value_kind:     global_buffer
      - .offset:         64
        .size:           4
        .value_kind:     by_value
      - .actual_access:  read_only
        .address_space:  global
        .offset:         72
        .size:           8
        .value_kind:     global_buffer
      - .actual_access:  read_only
        .address_space:  global
        .offset:         80
        .size:           8
        .value_kind:     global_buffer
      - .actual_access:  read_only
        .address_space:  global
        .offset:         88
        .size:           8
        .value_kind:     global_buffer
      - .actual_access:  write_only
        .address_space:  global
        .offset:         96
        .size:           8
        .value_kind:     global_buffer
    .group_segment_fixed_size: 0
    .kernarg_segment_align: 8
    .kernarg_segment_size: 104
    .language:       OpenCL C
    .language_version:
      - 2
      - 0
    .max_flat_workgroup_size: 81
    .name:           fft_rtc_back_len2430_factors_10_3_3_3_3_3_wgs_81_tpt_81_halfLds_dp_op_CI_CI_unitstride_sbrr_R2C_dirReg
    .private_segment_fixed_size: 0
    .sgpr_count:     29
    .sgpr_spill_count: 0
    .symbol:         fft_rtc_back_len2430_factors_10_3_3_3_3_3_wgs_81_tpt_81_halfLds_dp_op_CI_CI_unitstride_sbrr_R2C_dirReg.kd
    .uniform_work_group_size: 1
    .uses_dynamic_stack: false
    .vgpr_count:     237
    .vgpr_spill_count: 0
    .wavefront_size: 32
    .workgroup_processor_mode: 1
amdhsa.target:   amdgcn-amd-amdhsa--gfx1100
amdhsa.version:
  - 1
  - 2
...

	.end_amdgpu_metadata
